;; amdgpu-corpus repo=ROCm/bitsandbytes kind=harvested arch=n/a opt=n/a
	.text
	.amdgcn_target "amdgcn-amd-amdhsa--gfx1100"
	.amdhsa_code_object_version 6
	.protected	_Z27kspmm_coo_very_sparse_naiveIaLi32ELi8EEvPiS0_S0_S0_S0_P6__halfPT_S2_Pfiiii ; -- Begin function _Z27kspmm_coo_very_sparse_naiveIaLi32ELi8EEvPiS0_S0_S0_S0_P6__halfPT_S2_Pfiiii
	.globl	_Z27kspmm_coo_very_sparse_naiveIaLi32ELi8EEvPiS0_S0_S0_S0_P6__halfPT_S2_Pfiiii
	.p2align	8
	.type	_Z27kspmm_coo_very_sparse_naiveIaLi32ELi8EEvPiS0_S0_S0_S0_P6__halfPT_S2_Pfiiii,@function
_Z27kspmm_coo_very_sparse_naiveIaLi32ELi8EEvPiS0_S0_S0_S0_P6__halfPT_S2_Pfiiii: ; @_Z27kspmm_coo_very_sparse_naiveIaLi32ELi8EEvPiS0_S0_S0_S0_P6__halfPT_S2_Pfiiii
; %bb.0:
	s_load_b512 s[36:51], s[0:1], 0x0
	s_mov_b32 s6, s15
	s_mov_b32 s7, 0
	s_delay_alu instid0(SALU_CYCLE_1)
	s_lshl_b64 s[2:3], s[6:7], 2
	s_waitcnt lgkmcnt(0)
	s_add_u32 s8, s36, s2
	s_addc_u32 s9, s37, s3
	s_add_u32 s2, s38, s2
	s_addc_u32 s3, s39, s3
	s_load_b32 s4, s[2:3], 0x0
	s_load_b32 s98, s[8:9], 0x0
	s_mov_b32 s2, 0
	s_waitcnt lgkmcnt(0)
	s_cmp_eq_u32 s4, 0
	s_cbranch_scc1 .LBB36_2
; %bb.1:
	s_ashr_i32 s5, s4, 31
	s_delay_alu instid0(SALU_CYCLE_1) | instskip(NEXT) | instid1(SALU_CYCLE_1)
	s_lshl_b64 s[2:3], s[4:5], 2
	s_add_u32 s2, s40, s2
	s_addc_u32 s3, s41, s3
	s_add_u32 s2, s2, -4
	s_addc_u32 s3, s3, -1
	s_load_b32 s2, s[2:3], 0x0
.LBB36_2:
	s_waitcnt lgkmcnt(0)
	s_ashr_i32 s3, s2, 31
	v_dual_mov_b32 v1, 0 :: v_dual_mov_b32 v2, 0
	s_lshl_b64 s[4:5], s[2:3], 2
	s_delay_alu instid0(SALU_CYCLE_1)
	s_add_u32 s8, s42, s4
	s_addc_u32 s9, s43, s5
	s_cmp_lt_i32 s98, 1
	s_cselect_b32 s40, -1, 0
	s_cmp_gt_i32 s98, 0
	s_cbranch_scc0 .LBB36_4
; %bb.3:
	s_lshl_b64 s[6:7], s[2:3], 1
	v_mov_b32_e32 v2, 0
	s_add_u32 s6, s46, s6
	s_addc_u32 s7, s47, s7
	global_load_u16 v2, v2, s[6:7]
	s_add_u32 s6, s44, s4
	s_addc_u32 s7, s45, s5
	s_load_b32 s7, s[6:7], 0x0
.LBB36_4:
	s_load_b32 s6, s[8:9], 0x0
	s_waitcnt lgkmcnt(0)
	v_mov_b32_e32 v3, s7
	s_mov_b32 s7, 0
	s_cmp_lt_i32 s98, 2
	s_mov_b32 s8, 0
	s_waitcnt vmcnt(0)
	s_clause 0x1
	scratch_store_b16 off, v2, off
	scratch_store_b32 off, v3, off offset:64
	s_cbranch_scc1 .LBB36_6
; %bb.5:
	s_lshl_b64 s[8:9], s[2:3], 1
	v_mov_b32_e32 v1, 0
	s_add_u32 s8, s46, s8
	s_addc_u32 s9, s47, s9
	global_load_u16 v1, v1, s[8:9] offset:2
	s_add_u32 s8, s44, s4
	s_addc_u32 s9, s45, s5
	s_load_b32 s8, s[8:9], 0x4
.LBB36_6:
	s_waitcnt lgkmcnt(0)
	v_dual_mov_b32 v4, s8 :: v_dual_mov_b32 v3, 0
	v_mov_b32_e32 v2, 0
	s_cmp_lt_i32 s98, 3
	s_waitcnt vmcnt(0)
	s_clause 0x1
	scratch_store_b16 off, v1, off offset:2
	scratch_store_b32 off, v4, off offset:68
	s_cbranch_scc1 .LBB36_8
; %bb.7:
	s_lshl_b64 s[8:9], s[2:3], 1
	v_mov_b32_e32 v1, 0
	s_add_u32 s8, s46, s8
	s_addc_u32 s9, s47, s9
	global_load_u16 v3, v1, s[8:9] offset:4
	s_add_u32 s8, s44, s4
	s_addc_u32 s9, s45, s5
	s_load_b32 s7, s[8:9], 0x8
.LBB36_8:
	s_waitcnt lgkmcnt(0)
	v_mov_b32_e32 v1, s7
	s_mov_b32 s7, 0
	s_cmp_lt_i32 s98, 4
	s_mov_b32 s8, 0
	s_waitcnt vmcnt(0)
	s_clause 0x1
	scratch_store_b16 off, v3, off offset:4
	scratch_store_b32 off, v1, off offset:72
	s_cbranch_scc1 .LBB36_10
; %bb.9:
	s_lshl_b64 s[8:9], s[2:3], 1
	v_mov_b32_e32 v1, 0
	s_add_u32 s8, s46, s8
	s_addc_u32 s9, s47, s9
	global_load_u16 v2, v1, s[8:9] offset:6
	s_add_u32 s8, s44, s4
	s_addc_u32 s9, s45, s5
	s_load_b32 s8, s[8:9], 0xc
.LBB36_10:
	s_waitcnt lgkmcnt(0)
	v_dual_mov_b32 v4, s8 :: v_dual_mov_b32 v1, 0
	v_mov_b32_e32 v3, 0
	s_cmp_lt_i32 s98, 5
	s_waitcnt vmcnt(0)
	s_clause 0x1
	scratch_store_b16 off, v2, off offset:6
	scratch_store_b32 off, v4, off offset:76
	s_cbranch_scc1 .LBB36_12
; %bb.11:
	s_lshl_b64 s[8:9], s[2:3], 1
	v_mov_b32_e32 v2, 0
	s_add_u32 s8, s46, s8
	s_addc_u32 s9, s47, s9
	global_load_u16 v3, v2, s[8:9] offset:8
	s_add_u32 s8, s44, s4
	s_addc_u32 s9, s45, s5
	s_load_b32 s7, s[8:9], 0x10
.LBB36_12:
	s_waitcnt lgkmcnt(0)
	v_mov_b32_e32 v2, s7
	s_mov_b32 s7, 0
	s_cmp_lt_i32 s98, 6
	s_mov_b32 s8, 0
	s_waitcnt vmcnt(0)
	s_clause 0x1
	scratch_store_b16 off, v3, off offset:8
	;; [unrolled: 39-line block ×14, first 2 shown]
	scratch_store_b32 off, v2, off offset:176
	s_cbranch_scc1 .LBB36_62
; %bb.61:
	s_lshl_b64 s[8:9], s[2:3], 1
	v_mov_b32_e32 v1, 0
	s_add_u32 s8, s46, s8
	s_addc_u32 s9, s47, s9
	global_load_u16 v3, v1, s[8:9] offset:58
	s_add_u32 s8, s44, s4
	s_addc_u32 s9, s45, s5
	s_load_b32 s8, s[8:9], 0x74
.LBB36_62:
	s_waitcnt lgkmcnt(0)
	v_dual_mov_b32 v4, s8 :: v_dual_mov_b32 v1, 0
	v_mov_b32_e32 v2, 0
	s_cmp_lt_i32 s98, 31
	s_waitcnt vmcnt(0)
	s_clause 0x1
	scratch_store_b16 off, v3, off offset:58
	scratch_store_b32 off, v4, off offset:180
	s_cbranch_scc1 .LBB36_64
; %bb.63:
	s_lshl_b64 s[8:9], s[2:3], 1
	v_mov_b32_e32 v2, 0
	s_add_u32 s8, s46, s8
	s_addc_u32 s9, s47, s9
	global_load_u16 v2, v2, s[8:9] offset:60
	s_add_u32 s8, s44, s4
	s_addc_u32 s9, s45, s5
	s_load_b32 s7, s[8:9], 0x78
.LBB36_64:
	s_waitcnt lgkmcnt(0)
	v_mov_b32_e32 v3, s7
	s_cmp_lt_i32 s98, 32
	s_mov_b32 s7, 0
	s_waitcnt vmcnt(0)
	s_clause 0x1
	scratch_store_b16 off, v2, off offset:60
	scratch_store_b32 off, v3, off offset:184
	s_cbranch_scc1 .LBB36_66
; %bb.65:
	s_lshl_b64 s[2:3], s[2:3], 1
	v_mov_b32_e32 v1, 0
	s_add_u32 s2, s46, s2
	s_addc_u32 s3, s47, s3
	global_load_u16 v1, v1, s[2:3] offset:62
	s_add_u32 s2, s44, s4
	s_addc_u32 s3, s45, s5
	s_load_b32 s7, s[2:3], 0x7c
.LBB36_66:
	s_load_b32 s41, s[0:1], 0x54
	s_waitcnt lgkmcnt(0)
	v_dual_mov_b32 v3, s7 :: v_dual_lshlrev_b32 v2, 5, v0
	s_mov_b32 s2, exec_lo
	s_waitcnt vmcnt(0)
	s_clause 0x1
	scratch_store_b16 off, v1, off offset:62
	scratch_store_b32 off, v3, off offset:188
	v_and_b32_e32 v7, 0x7c00, v2
	s_delay_alu instid0(VALU_DEP_1)
	v_cmpx_gt_i32_e64 s41, v7
	s_cbranch_execz .LBB36_433
; %bb.67:
	s_clause 0x1
	s_load_b64 s[2:3], s[0:1], 0x40
	s_load_b32 s4, s[0:1], 0x64
                                        ; implicit-def: $vgpr67 : SGPR spill to VGPR lane
	s_mul_i32 s42, s6, s41
                                        ; implicit-def: $vgpr66 : SGPR spill to VGPR lane
	v_and_b32_e32 v8, 0x3e0, v2
	v_add_lshl_u32 v2, v0, v7, 2
	v_dual_mov_b32 v10, v7 :: v_dual_lshlrev_b32 v9, 1, v0
	s_mov_b32 s63, 0
	s_delay_alu instid0(VALU_DEP_3) | instskip(NEXT) | instid1(VALU_DEP_1)
	v_or_b32_e32 v1, v7, v8
	v_lshlrev_b32_e32 v11, 1, v1
	s_waitcnt lgkmcnt(0)
	s_cmp_lg_u64 s[2:3], 0
	v_add_co_u32 v1, s2, s2, v2
	s_cselect_b32 s43, -1, 0
	s_add_u32 s38, s0, 0x58
	s_addc_u32 s39, s1, 0
	s_and_b32 s0, s4, 0xffff
	v_add_co_ci_u32_e64 v2, null, s3, 0, s2
	s_lshl_b32 s44, s0, 5
	s_add_u32 s0, s50, 2
	s_delay_alu instid0(SALU_CYCLE_1) | instskip(SKIP_1) | instid1(SALU_CYCLE_1)
	v_writelane_b32 v67, s0, 0
	s_addc_u32 s0, s51, 0
	v_writelane_b32 v67, s0, 1
	s_add_u32 s0, s50, 4
	s_delay_alu instid0(SALU_CYCLE_1) | instskip(SKIP_1) | instid1(SALU_CYCLE_1)
	v_writelane_b32 v67, s0, 2
	s_addc_u32 s0, s51, 0
	v_writelane_b32 v67, s0, 3
	;; [unrolled: 5-line block ×6, first 2 shown]
	s_add_u32 s0, s50, 14
	s_delay_alu instid0(SALU_CYCLE_1)
	v_writelane_b32 v67, s0, 12
	s_addc_u32 s0, s51, 0
	s_add_u32 s64, s48, 8
	s_addc_u32 s65, s49, 0
	s_add_u32 s66, s48, 9
	;; [unrolled: 2-line block ×16, first 2 shown]
	v_writelane_b32 v67, s0, 13
	s_addc_u32 s95, s49, 0
	s_add_u32 s96, s48, 24
	s_addc_u32 s97, s49, 0
	s_add_u32 s0, s48, 25
	s_delay_alu instid0(SALU_CYCLE_1) | instskip(SKIP_1) | instid1(SALU_CYCLE_1)
	v_writelane_b32 v67, s0, 14
	s_addc_u32 s0, s49, 0
	v_writelane_b32 v67, s0, 15
	s_add_u32 s0, s48, 26
	s_delay_alu instid0(SALU_CYCLE_1) | instskip(SKIP_1) | instid1(SALU_CYCLE_1)
	v_writelane_b32 v67, s0, 16
	s_addc_u32 s0, s49, 0
	v_writelane_b32 v67, s0, 17
	;; [unrolled: 5-line block ×6, first 2 shown]
	s_add_u32 s0, s48, 31
	s_delay_alu instid0(SALU_CYCLE_1) | instskip(SKIP_4) | instid1(SALU_CYCLE_1)
	v_writelane_b32 v67, s0, 26
	s_addc_u32 s0, s49, 0
	s_ashr_i32 s56, s42, 31
	v_writelane_b32 v67, s0, 27
	s_add_u32 s0, s50, 16
	v_writelane_b32 v67, s0, 28
	s_addc_u32 s0, s51, 0
	s_delay_alu instid0(SALU_CYCLE_1) | instskip(SKIP_1) | instid1(SALU_CYCLE_1)
	v_writelane_b32 v67, s0, 29
	s_add_u32 s0, s50, 18
	v_writelane_b32 v67, s0, 30
	s_addc_u32 s0, s51, 0
	s_delay_alu instid0(SALU_CYCLE_1) | instskip(SKIP_1) | instid1(SALU_CYCLE_1)
	v_writelane_b32 v67, s0, 31
	s_add_u32 s0, s50, 20
	v_writelane_b32 v66, s0, 0
	s_addc_u32 s0, s51, 0
	s_delay_alu instid0(SALU_CYCLE_1) | instskip(SKIP_1) | instid1(SALU_CYCLE_1)
	v_writelane_b32 v66, s0, 1
	s_add_u32 s0, s50, 22
	v_writelane_b32 v66, s0, 2
	s_addc_u32 s0, s51, 0
	s_delay_alu instid0(SALU_CYCLE_1) | instskip(SKIP_1) | instid1(SALU_CYCLE_1)
	v_writelane_b32 v66, s0, 3
	s_add_u32 s0, s50, 24
	v_writelane_b32 v66, s0, 4
	s_addc_u32 s0, s51, 0
	s_delay_alu instid0(SALU_CYCLE_1) | instskip(SKIP_1) | instid1(SALU_CYCLE_1)
	v_writelane_b32 v66, s0, 5
	s_add_u32 s0, s50, 26
	v_writelane_b32 v66, s0, 6
	s_addc_u32 s0, s51, 0
	s_delay_alu instid0(SALU_CYCLE_1) | instskip(SKIP_1) | instid1(SALU_CYCLE_1)
	v_writelane_b32 v66, s0, 7
	s_add_u32 s0, s50, 28
	v_writelane_b32 v66, s0, 8
	s_addc_u32 s0, s51, 0
	s_delay_alu instid0(SALU_CYCLE_1) | instskip(SKIP_1) | instid1(SALU_CYCLE_1)
	v_writelane_b32 v66, s0, 9
	s_add_u32 s0, s50, 30
	v_writelane_b32 v66, s0, 10
	s_addc_u32 s0, s51, 0
	s_delay_alu instid0(SALU_CYCLE_1) | instskip(SKIP_1) | instid1(SALU_CYCLE_1)
	v_writelane_b32 v66, s0, 11
	s_add_u32 s0, s50, 32
	v_writelane_b32 v66, s0, 12
	s_addc_u32 s0, s51, 0
	s_delay_alu instid0(SALU_CYCLE_1) | instskip(SKIP_1) | instid1(SALU_CYCLE_1)
	v_writelane_b32 v66, s0, 13
	s_add_u32 s0, s50, 34
	v_writelane_b32 v66, s0, 14
	s_addc_u32 s0, s51, 0
	s_delay_alu instid0(SALU_CYCLE_1) | instskip(SKIP_1) | instid1(SALU_CYCLE_1)
	v_writelane_b32 v66, s0, 15
	s_add_u32 s0, s50, 36
	v_writelane_b32 v66, s0, 16
	s_addc_u32 s0, s51, 0
	s_delay_alu instid0(SALU_CYCLE_1) | instskip(SKIP_1) | instid1(SALU_CYCLE_1)
	v_writelane_b32 v66, s0, 17
	s_add_u32 s0, s50, 38
	v_writelane_b32 v66, s0, 18
	s_addc_u32 s0, s51, 0
	s_delay_alu instid0(SALU_CYCLE_1) | instskip(SKIP_1) | instid1(SALU_CYCLE_1)
	v_writelane_b32 v66, s0, 19
	s_add_u32 s0, s50, 40
	v_writelane_b32 v66, s0, 20
	s_addc_u32 s0, s51, 0
	s_delay_alu instid0(SALU_CYCLE_1) | instskip(SKIP_1) | instid1(SALU_CYCLE_1)
	v_writelane_b32 v66, s0, 21
	s_add_u32 s0, s50, 42
	v_writelane_b32 v66, s0, 22
	s_addc_u32 s0, s51, 0
	s_delay_alu instid0(SALU_CYCLE_1) | instskip(SKIP_1) | instid1(SALU_CYCLE_1)
	v_writelane_b32 v66, s0, 23
	s_add_u32 s0, s50, 44
	v_writelane_b32 v66, s0, 24
	s_addc_u32 s0, s51, 0
	s_delay_alu instid0(SALU_CYCLE_1) | instskip(SKIP_1) | instid1(SALU_CYCLE_1)
	v_writelane_b32 v66, s0, 25
	s_add_u32 s0, s50, 46
	v_writelane_b32 v66, s0, 26
	s_addc_u32 s0, s51, 0
	s_delay_alu instid0(SALU_CYCLE_1) | instskip(SKIP_1) | instid1(SALU_CYCLE_1)
	v_writelane_b32 v66, s0, 27
	s_add_u32 s0, s50, 48
	v_writelane_b32 v66, s0, 28
	s_addc_u32 s0, s51, 0
	s_delay_alu instid0(SALU_CYCLE_1)
	v_writelane_b32 v66, s0, 29
	s_add_u32 s0, s50, 50
	s_addc_u32 vcc_hi, s51, 0
	s_add_u32 s45, s50, 52
	s_addc_u32 s46, s51, 0
	s_add_u32 s47, s50, 54
	s_addc_u32 s53, s51, 0
	;; [unrolled: 2-line block ×6, first 2 shown]
	v_writelane_b32 v66, s0, 30
	s_branch .LBB36_69
.LBB36_68:                              ;   in Loop: Header=BB36_69 Depth=1
	s_or_b32 exec_lo, exec_lo, s0
	v_add_nc_u32_e32 v10, s44, v10
	s_delay_alu instid0(VALU_DEP_1) | instskip(SKIP_1) | instid1(SALU_CYCLE_1)
	v_cmp_le_i32_e32 vcc_lo, s41, v10
	s_or_b32 s63, vcc_lo, s63
	s_and_not1_b32 exec_lo, exec_lo, s63
	s_cbranch_execz .LBB36_433
.LBB36_69:                              ; =>This Loop Header: Depth=1
                                        ;     Child Loop BB36_72 Depth 2
                                        ;     Child Loop BB36_85 Depth 2
	s_and_not1_b32 vcc_lo, exec_lo, s43
	s_cbranch_vccnz .LBB36_75
; %bb.70:                               ;   in Loop: Header=BB36_69 Depth=1
	s_load_b32 s0, s[38:39], 0xc
	v_dual_mov_b32 v4, v2 :: v_dual_mov_b32 v3, v1
	v_dual_mov_b32 v5, v9 :: v_dual_mov_b32 v6, v0
	s_mov_b32 s3, 0
	s_waitcnt lgkmcnt(0)
	s_and_b32 s1, s0, 0xffff
	s_delay_alu instid0(SALU_CYCLE_1)
	s_lshl_b32 s2, s1, 1
	s_lshl_b32 s4, s1, 2
	s_branch .LBB36_72
	.p2align	6
.LBB36_71:                              ;   in Loop: Header=BB36_72 Depth=2
	s_or_b32 exec_lo, exec_lo, s0
	v_add_nc_u32_e32 v6, s1, v6
	v_add_co_u32 v3, s0, v3, s4
	v_add_nc_u32_e32 v5, s2, v5
	v_add_co_ci_u32_e64 v4, s0, 0, v4, s0
	s_delay_alu instid0(VALU_DEP_4) | instskip(SKIP_1) | instid1(SALU_CYCLE_1)
	v_cmp_lt_u32_e32 vcc_lo, 0x7ff, v6
	s_or_b32 s3, vcc_lo, s3
	s_and_not1_b32 exec_lo, exec_lo, s3
	s_cbranch_execz .LBB36_74
.LBB36_72:                              ;   Parent Loop BB36_69 Depth=1
                                        ; =>  This Inner Loop Header: Depth=2
	v_add_nc_u32_e32 v12, v7, v6
	s_mov_b32 s0, exec_lo
	s_delay_alu instid0(VALU_DEP_1)
	v_cmpx_gt_i32_e64 s41, v12
	s_cbranch_execz .LBB36_71
; %bb.73:                               ;   in Loop: Header=BB36_72 Depth=2
	global_load_b32 v12, v[3:4], off
	s_waitcnt vmcnt(0)
	v_cvt_f16_f32_e32 v12, v12
	ds_store_b16 v5, v12
	s_branch .LBB36_71
.LBB36_74:                              ;   in Loop: Header=BB36_69 Depth=1
	s_or_b32 exec_lo, exec_lo, s3
	s_waitcnt lgkmcnt(0)
	s_waitcnt_vscnt null, 0x0
	s_barrier
	buffer_gl0_inv
.LBB36_75:                              ;   in Loop: Header=BB36_69 Depth=1
	v_add_nc_u32_e32 v12, v10, v8
	s_and_not1_b32 vcc_lo, exec_lo, s40
	s_cbranch_vccnz .LBB36_77
; %bb.76:                               ;   in Loop: Header=BB36_69 Depth=1
	s_delay_alu instid0(VALU_DEP_1)
	v_or_b32_e32 v20, 8, v12
	s_mov_b32 s5, 0
	s_mov_b32 s0, 0
	s_branch .LBB36_78
.LBB36_77:                              ;   in Loop: Header=BB36_69 Depth=1
	s_mov_b32 s5, -1
                                        ; implicit-def: $sgpr0
                                        ; implicit-def: $vgpr20
.LBB36_78:                              ;   in Loop: Header=BB36_69 Depth=1
	s_delay_alu instid0(VALU_DEP_1)
	v_or_b32_e32 v16, 16, v12
	v_mov_b32_e32 v54, s0
	v_or_b32_e32 v13, 24, v12
	v_add_nc_u32_e32 v14, 32, v12
	s_and_not1_b32 vcc_lo, exec_lo, s5
	v_cmp_gt_i32_e64 s0, s41, v16
	v_mov_b32_e32 v5, v54
	v_cmp_le_i32_e64 s1, s41, v16
	v_cmp_gt_i32_e64 s2, s41, v13
	v_cmp_le_i32_e64 s3, s41, v13
	v_cmp_le_i32_e64 s4, s41, v14
	v_mov_b32_e32 v6, v54
	v_mov_b32_e32 v53, v54
	;; [unrolled: 1-line block ×30, first 2 shown]
	s_cbranch_vccnz .LBB36_353
; %bb.79:                               ;   in Loop: Header=BB36_69 Depth=1
	v_or_b32_e32 v3, 1, v12
	v_or_b32_e32 v4, 2, v12
	v_or_b32_e32 v5, 3, v12
	v_or_b32_e32 v6, 7, v12
	v_or_b32_e32 v15, 9, v12
	v_cmp_gt_i32_e64 s8, s41, v3
	v_cmp_gt_i32_e64 s9, s41, v4
	;; [unrolled: 1-line block ×3, first 2 shown]
	v_or_b32_e32 v3, 4, v12
	v_or_b32_e32 v4, 5, v12
	v_or_b32_e32 v5, 6, v12
	v_cmp_gt_i32_e64 s14, s41, v6
	v_cmp_gt_i32_e64 s15, s41, v15
	v_cmp_gt_i32_e64 s11, s41, v3
	v_cmp_gt_i32_e64 s12, s41, v4
	v_cmp_gt_i32_e64 s13, s41, v5
	v_or_b32_e32 v3, 10, v12
	v_or_b32_e32 v4, 11, v12
	v_or_b32_e32 v5, 12, v12
	v_or_b32_e32 v6, 13, v12
	v_or_b32_e32 v15, 14, v12
	v_cmp_gt_i32_e64 s16, s41, v3
	v_cmp_gt_i32_e64 s17, s41, v4
	v_cmp_gt_i32_e64 s18, s41, v5
	v_cmp_gt_i32_e64 s19, s41, v6
	v_cmp_gt_i32_e64 s20, s41, v15
	v_or_b32_e32 v3, 15, v12
	v_or_b32_e32 v4, 17, v12
	;; [unrolled: 10-line block ×3, first 2 shown]
	v_or_b32_e32 v5, 23, v12
	v_or_b32_e32 v6, 25, v12
	;; [unrolled: 1-line block ×4, first 2 shown]
	v_cmp_gt_i32_e64 s26, s41, v3
	v_cmp_gt_i32_e64 s27, s41, v4
	;; [unrolled: 1-line block ×5, first 2 shown]
	v_or_b32_e32 v3, 27, v12
	v_or_b32_e32 v4, 28, v12
	;; [unrolled: 1-line block ×5, first 2 shown]
	v_cmp_gt_i32_e64 s5, s41, v12
	v_cmp_gt_i32_e64 s6, s41, v20
	v_cmp_le_i32_e64 s7, s41, v20
	v_cmp_gt_i32_e64 s31, s41, v3
	v_cmp_gt_i32_e64 s33, s41, v4
	;; [unrolled: 1-line block ×5, first 2 shown]
	v_ashrrev_i32_e32 v25, 31, v12
	v_dual_mov_b32 v26, 64 :: v_dual_mov_b32 v27, 0
	v_dual_mov_b32 v15, 0 :: v_dual_mov_b32 v18, 0
	;; [unrolled: 1-line block ×11, first 2 shown]
	v_mov_b32_e32 v41, 0
	v_mov_b32_e32 v43, 0
	;; [unrolled: 1-line block ×12, first 2 shown]
	s_mov_b32 s52, s98
	s_branch .LBB36_85
.LBB36_80:                              ;   in Loop: Header=BB36_85 Depth=2
	v_dual_mov_b32 v24, v28 :: v_dual_mov_b32 v23, v29
	v_dual_mov_b32 v22, v31 :: v_dual_mov_b32 v21, v6
	;; [unrolled: 1-line block ×3, first 2 shown]
	v_mov_b32_e32 v17, v33
	v_mov_b32_e32 v15, v4
.LBB36_81:                              ;   in Loop: Header=BB36_85 Depth=2
	s_or_b32 exec_lo, exec_lo, s102
	s_delay_alu instid0(VALU_DEP_1)
	v_dual_mov_b32 v43, v48 :: v_dual_mov_b32 v28, v61
	v_mov_b32_e32 v41, v50
	v_mov_b32_e32 v39, v52
	;; [unrolled: 1-line block ×6, first 2 shown]
.LBB36_82:                              ;   in Loop: Header=BB36_85 Depth=2
	s_or_b32 exec_lo, exec_lo, s101
	v_dual_mov_b32 v61, v45 :: v_dual_mov_b32 v60, v47
	v_dual_mov_b32 v59, v49 :: v_dual_mov_b32 v52, v54
	;; [unrolled: 1-line block ×4, first 2 shown]
.LBB36_83:                              ;   in Loop: Header=BB36_85 Depth=2
	s_or_b32 exec_lo, exec_lo, s100
	v_dual_mov_b32 v54, v30 :: v_dual_mov_b32 v53, v36
	v_dual_mov_b32 v6, v32 :: v_dual_mov_b32 v5, v34
	v_mov_b32_e32 v51, v38
	v_mov_b32_e32 v49, v40
	;; [unrolled: 1-line block ×4, first 2 shown]
.LBB36_84:                              ;   in Loop: Header=BB36_85 Depth=2
	s_or_b32 exec_lo, exec_lo, s99
	v_add_nc_u32_e32 v26, 4, v26
	v_add_nc_u32_e32 v27, 2, v27
	s_add_i32 s52, s52, -1
	s_delay_alu instid0(SALU_CYCLE_1)
	s_cmp_eq_u32 s52, 0
	s_cbranch_scc1 .LBB36_353
.LBB36_85:                              ;   Parent Loop BB36_69 Depth=1
                                        ; =>  This Inner Loop Header: Depth=2
	s_and_saveexec_b32 s99, s5
	s_cbranch_execz .LBB36_84
; %bb.86:                               ;   in Loop: Header=BB36_85 Depth=2
	scratch_load_b32 v3, v26, off
	s_waitcnt vmcnt(0)
	v_mul_lo_u32 v46, v3, s41
                                        ; implicit-def: $vgpr3_vgpr4
	s_delay_alu instid0(VALU_DEP_1) | instskip(SKIP_1) | instid1(SALU_CYCLE_1)
	v_add_nc_u32_e32 v30, v12, v46
	s_and_saveexec_b32 s37, s7
	s_xor_b32 s37, exec_lo, s37
	s_cbranch_execnz .LBB36_256
; %bb.87:                               ;   in Loop: Header=BB36_85 Depth=2
	s_and_not1_saveexec_b32 s37, s37
	s_cbranch_execnz .LBB36_269
.LBB36_88:                              ;   in Loop: Header=BB36_85 Depth=2
	s_or_b32 exec_lo, exec_lo, s37
	s_delay_alu instid0(SALU_CYCLE_1)
	s_and_not1_b32 vcc_lo, exec_lo, s43
	s_cbranch_vccnz .LBB36_270
.LBB36_89:                              ;   in Loop: Header=BB36_85 Depth=2
	scratch_load_u16 v37, v27, off
	s_waitcnt vmcnt(1)
	v_and_b32_e32 v30, 0xff, v3
	s_delay_alu instid0(VALU_DEP_1) | instskip(SKIP_3) | instid1(VALU_DEP_1)
	v_cmp_ne_u16_e32 vcc_lo, 0, v30
	v_mov_b32_e32 v30, v54
	s_waitcnt vmcnt(0)
	v_cmp_neq_f16_e64 s37, 0, v37
	s_and_b32 s100, vcc_lo, s37
	s_delay_alu instid0(SALU_CYCLE_1)
	s_and_saveexec_b32 s37, s100
	s_cbranch_execz .LBB36_91
; %bb.90:                               ;   in Loop: Header=BB36_85 Depth=2
	ds_load_u16 v30, v11
	s_waitcnt lgkmcnt(0)
	v_cvt_f32_f16_e32 v30, v30
	s_delay_alu instid0(VALU_DEP_1) | instskip(NEXT) | instid1(VALU_DEP_1)
	v_div_scale_f32 v32, null, 0x42fe0000, 0x42fe0000, v30
	v_rcp_f32_e32 v34, v32
	s_waitcnt_depctr 0xfff
	v_fma_f32 v36, -v32, v34, 1.0
	s_delay_alu instid0(VALU_DEP_1) | instskip(SKIP_1) | instid1(VALU_DEP_1)
	v_fmac_f32_e32 v34, v36, v34
	v_div_scale_f32 v36, vcc_lo, v30, 0x42fe0000, v30
	v_mul_f32_e32 v38, v36, v34
	s_delay_alu instid0(VALU_DEP_1) | instskip(NEXT) | instid1(VALU_DEP_1)
	v_fma_f32 v40, -v32, v38, v36
	v_fmac_f32_e32 v38, v40, v34
	v_bfe_i32 v40, v3, 0, 8
	s_delay_alu instid0(VALU_DEP_2) | instskip(NEXT) | instid1(VALU_DEP_2)
	v_fma_f32 v32, -v32, v38, v36
	v_bfe_i32 v36, v40, 0, 16
	s_delay_alu instid0(VALU_DEP_2) | instskip(NEXT) | instid1(VALU_DEP_2)
	v_div_fmas_f32 v32, v32, v34, v38
	v_cvt_f32_i32_e32 v34, v36
	s_delay_alu instid0(VALU_DEP_2) | instskip(NEXT) | instid1(VALU_DEP_1)
	v_div_fixup_f32 v30, v32, 0x42fe0000, v30
	v_mul_f32_e32 v30, v30, v34
	s_delay_alu instid0(VALU_DEP_1)
	v_fma_mixlo_f16 v30, v30, v37, v54 op_sel_hi:[0,1,1]
.LBB36_91:                              ;   in Loop: Header=BB36_85 Depth=2
	s_or_b32 exec_lo, exec_lo, s37
	s_cbranch_execnz .LBB36_93
.LBB36_92:                              ;   in Loop: Header=BB36_85 Depth=2
	scratch_load_u16 v37, v27, off
	s_waitcnt vmcnt(1)
	v_bfe_i32 v30, v3, 0, 8
	s_delay_alu instid0(VALU_DEP_1) | instskip(NEXT) | instid1(VALU_DEP_1)
	v_bfe_i32 v30, v30, 0, 16
	v_cvt_f32_i32_e32 v30, v30
	s_waitcnt vmcnt(0)
	s_delay_alu instid0(VALU_DEP_1)
	v_fma_mixlo_f16 v30, v30, v37, v54 op_sel_hi:[0,1,1]
.LBB36_93:                              ;   in Loop: Header=BB36_85 Depth=2
	v_cmp_neq_f16_e64 s37, 0, v37
	s_waitcnt vmcnt(0)
	v_lshrrev_b32_e32 v34, 8, v3
	s_and_not1_b32 vcc_lo, exec_lo, s43
	s_cbranch_vccnz .LBB36_271
; %bb.94:                               ;   in Loop: Header=BB36_85 Depth=2
	s_delay_alu instid0(VALU_DEP_1) | instskip(NEXT) | instid1(VALU_DEP_1)
	v_and_b32_e32 v32, 0xff, v34
	v_cmp_ne_u16_e32 vcc_lo, 0, v32
	v_mov_b32_e32 v32, v6
	s_and_b32 s100, vcc_lo, s37
	s_delay_alu instid0(SALU_CYCLE_1)
	s_and_saveexec_b32 s37, s100
	s_cbranch_execz .LBB36_96
; %bb.95:                               ;   in Loop: Header=BB36_85 Depth=2
	ds_load_u16 v32, v11 offset:2
	s_waitcnt lgkmcnt(0)
	v_cvt_f32_f16_e32 v32, v32
	s_delay_alu instid0(VALU_DEP_1) | instskip(NEXT) | instid1(VALU_DEP_1)
	v_div_scale_f32 v36, null, 0x42fe0000, 0x42fe0000, v32
	v_rcp_f32_e32 v38, v36
	s_waitcnt_depctr 0xfff
	v_fma_f32 v40, -v36, v38, 1.0
	s_delay_alu instid0(VALU_DEP_1) | instskip(SKIP_1) | instid1(VALU_DEP_1)
	v_fmac_f32_e32 v38, v40, v38
	v_div_scale_f32 v40, vcc_lo, v32, 0x42fe0000, v32
	v_mul_f32_e32 v42, v40, v38
	s_delay_alu instid0(VALU_DEP_1) | instskip(NEXT) | instid1(VALU_DEP_1)
	v_fma_f32 v44, -v36, v42, v40
	v_fmac_f32_e32 v42, v44, v38
	v_bfe_i32 v44, v34, 0, 8
	s_delay_alu instid0(VALU_DEP_2) | instskip(NEXT) | instid1(VALU_DEP_2)
	v_fma_f32 v36, -v36, v42, v40
	v_bfe_i32 v40, v44, 0, 16
	s_delay_alu instid0(VALU_DEP_2) | instskip(NEXT) | instid1(VALU_DEP_2)
	v_div_fmas_f32 v36, v36, v38, v42
	v_cvt_f32_i32_e32 v38, v40
	s_delay_alu instid0(VALU_DEP_2) | instskip(NEXT) | instid1(VALU_DEP_1)
	v_div_fixup_f32 v32, v36, 0x42fe0000, v32
	v_mul_f32_e32 v32, v32, v38
	s_delay_alu instid0(VALU_DEP_1)
	v_fma_mixlo_f16 v32, v32, v37, v6 op_sel_hi:[0,1,1]
.LBB36_96:                              ;   in Loop: Header=BB36_85 Depth=2
	s_or_b32 exec_lo, exec_lo, s37
	s_cbranch_execnz .LBB36_98
.LBB36_97:                              ;   in Loop: Header=BB36_85 Depth=2
	s_delay_alu instid0(VALU_DEP_1) | instskip(NEXT) | instid1(VALU_DEP_1)
	v_bfe_i32 v32, v34, 0, 8
	v_bfe_i32 v32, v32, 0, 16
	s_delay_alu instid0(VALU_DEP_1) | instskip(NEXT) | instid1(VALU_DEP_1)
	v_cvt_f32_i32_e32 v32, v32
	v_fma_mixlo_f16 v32, v32, v37, v6 op_sel_hi:[0,1,1]
.LBB36_98:                              ;   in Loop: Header=BB36_85 Depth=2
	v_lshrrev_b32_e32 v6, 16, v3
	s_and_not1_b32 vcc_lo, exec_lo, s43
	s_cbranch_vccnz .LBB36_272
; %bb.99:                               ;   in Loop: Header=BB36_85 Depth=2
	s_delay_alu instid0(VALU_DEP_1) | instskip(SKIP_1) | instid1(VALU_DEP_2)
	v_and_b32_e32 v34, 0xff, v6
	v_cmp_neq_f16_e64 s37, 0, v37
	v_cmp_ne_u16_e32 vcc_lo, 0, v34
	v_mov_b32_e32 v34, v5
	s_delay_alu instid0(VALU_DEP_3) | instskip(NEXT) | instid1(SALU_CYCLE_1)
	s_and_b32 s100, vcc_lo, s37
	s_and_saveexec_b32 s37, s100
	s_cbranch_execz .LBB36_101
; %bb.100:                              ;   in Loop: Header=BB36_85 Depth=2
	ds_load_u16 v34, v11 offset:4
	s_waitcnt lgkmcnt(0)
	v_cvt_f32_f16_e32 v34, v34
	s_delay_alu instid0(VALU_DEP_1) | instskip(NEXT) | instid1(VALU_DEP_1)
	v_div_scale_f32 v36, null, 0x42fe0000, 0x42fe0000, v34
	v_rcp_f32_e32 v38, v36
	s_waitcnt_depctr 0xfff
	v_fma_f32 v40, -v36, v38, 1.0
	s_delay_alu instid0(VALU_DEP_1) | instskip(SKIP_1) | instid1(VALU_DEP_1)
	v_fmac_f32_e32 v38, v40, v38
	v_div_scale_f32 v40, vcc_lo, v34, 0x42fe0000, v34
	v_mul_f32_e32 v42, v40, v38
	s_delay_alu instid0(VALU_DEP_1) | instskip(NEXT) | instid1(VALU_DEP_1)
	v_fma_f32 v44, -v36, v42, v40
	v_fmac_f32_e32 v42, v44, v38
	v_bfe_i32 v44, v6, 0, 8
	s_delay_alu instid0(VALU_DEP_2) | instskip(NEXT) | instid1(VALU_DEP_2)
	v_fma_f32 v36, -v36, v42, v40
	v_bfe_i32 v40, v44, 0, 16
	s_delay_alu instid0(VALU_DEP_2) | instskip(NEXT) | instid1(VALU_DEP_2)
	v_div_fmas_f32 v36, v36, v38, v42
	v_cvt_f32_i32_e32 v38, v40
	s_delay_alu instid0(VALU_DEP_2) | instskip(NEXT) | instid1(VALU_DEP_1)
	v_div_fixup_f32 v34, v36, 0x42fe0000, v34
	v_mul_f32_e32 v34, v34, v38
	s_delay_alu instid0(VALU_DEP_1)
	v_fma_mixlo_f16 v34, v34, v37, v5 op_sel_hi:[0,1,1]
.LBB36_101:                             ;   in Loop: Header=BB36_85 Depth=2
	s_or_b32 exec_lo, exec_lo, s37
	s_cbranch_execnz .LBB36_103
.LBB36_102:                             ;   in Loop: Header=BB36_85 Depth=2
	s_delay_alu instid0(VALU_DEP_1) | instskip(NEXT) | instid1(VALU_DEP_1)
	v_bfe_i32 v6, v6, 0, 8
	v_bfe_i32 v6, v6, 0, 16
	s_delay_alu instid0(VALU_DEP_1) | instskip(NEXT) | instid1(VALU_DEP_1)
	v_cvt_f32_i32_e32 v6, v6
	v_fma_mixlo_f16 v34, v6, v37, v5 op_sel_hi:[0,1,1]
.LBB36_103:                             ;   in Loop: Header=BB36_85 Depth=2
	s_and_not1_b32 vcc_lo, exec_lo, s43
	s_cbranch_vccnz .LBB36_273
; %bb.104:                              ;   in Loop: Header=BB36_85 Depth=2
	v_lshrrev_b64 v[5:6], 24, v[3:4]
	v_cmp_neq_f16_e64 s37, 0, v37
	v_mov_b32_e32 v36, v53
	s_delay_alu instid0(VALU_DEP_3) | instskip(NEXT) | instid1(VALU_DEP_1)
	v_and_b32_e32 v6, 0xff, v5
	v_cmp_ne_u16_e32 vcc_lo, 0, v6
	s_delay_alu instid0(VALU_DEP_4) | instskip(NEXT) | instid1(SALU_CYCLE_1)
	s_and_b32 s100, vcc_lo, s37
	s_and_saveexec_b32 s37, s100
	s_cbranch_execz .LBB36_106
; %bb.105:                              ;   in Loop: Header=BB36_85 Depth=2
	ds_load_u16 v6, v11 offset:6
	v_bfe_i32 v5, v5, 0, 8
	s_delay_alu instid0(VALU_DEP_1) | instskip(NEXT) | instid1(VALU_DEP_1)
	v_bfe_i32 v5, v5, 0, 16
	v_cvt_f32_i32_e32 v5, v5
	s_waitcnt lgkmcnt(0)
	v_cvt_f32_f16_e32 v6, v6
	s_delay_alu instid0(VALU_DEP_1) | instskip(NEXT) | instid1(VALU_DEP_1)
	v_div_scale_f32 v36, null, 0x42fe0000, 0x42fe0000, v6
	v_rcp_f32_e32 v38, v36
	s_waitcnt_depctr 0xfff
	v_fma_f32 v40, -v36, v38, 1.0
	s_delay_alu instid0(VALU_DEP_1) | instskip(SKIP_1) | instid1(VALU_DEP_1)
	v_fmac_f32_e32 v38, v40, v38
	v_div_scale_f32 v40, vcc_lo, v6, 0x42fe0000, v6
	v_mul_f32_e32 v42, v40, v38
	s_delay_alu instid0(VALU_DEP_1) | instskip(NEXT) | instid1(VALU_DEP_1)
	v_fma_f32 v44, -v36, v42, v40
	v_fmac_f32_e32 v42, v44, v38
	s_delay_alu instid0(VALU_DEP_1) | instskip(NEXT) | instid1(VALU_DEP_1)
	v_fma_f32 v36, -v36, v42, v40
	v_div_fmas_f32 v36, v36, v38, v42
	s_delay_alu instid0(VALU_DEP_1) | instskip(NEXT) | instid1(VALU_DEP_1)
	v_div_fixup_f32 v6, v36, 0x42fe0000, v6
	v_mul_f32_e32 v5, v6, v5
	s_delay_alu instid0(VALU_DEP_1)
	v_fma_mixlo_f16 v36, v5, v37, v53 op_sel_hi:[0,1,1]
.LBB36_106:                             ;   in Loop: Header=BB36_85 Depth=2
	s_or_b32 exec_lo, exec_lo, s37
	s_cbranch_execnz .LBB36_108
.LBB36_107:                             ;   in Loop: Header=BB36_85 Depth=2
	v_lshrrev_b32_e32 v3, 24, v3
	s_delay_alu instid0(VALU_DEP_1) | instskip(NEXT) | instid1(VALU_DEP_1)
	v_bfe_i32 v3, v3, 0, 8
	v_bfe_i32 v3, v3, 0, 16
	s_delay_alu instid0(VALU_DEP_1) | instskip(NEXT) | instid1(VALU_DEP_1)
	v_cvt_f32_i32_e32 v3, v3
	v_fma_mixlo_f16 v36, v3, v37, v53 op_sel_hi:[0,1,1]
.LBB36_108:                             ;   in Loop: Header=BB36_85 Depth=2
	s_and_not1_b32 vcc_lo, exec_lo, s43
	s_cbranch_vccnz .LBB36_274
; %bb.109:                              ;   in Loop: Header=BB36_85 Depth=2
	v_dual_mov_b32 v38, v51 :: v_dual_and_b32 v3, 0xff, v4
	v_cmp_neq_f16_e64 s37, 0, v37
	s_delay_alu instid0(VALU_DEP_2) | instskip(NEXT) | instid1(VALU_DEP_2)
	v_cmp_ne_u16_e32 vcc_lo, 0, v3
	s_and_b32 s100, vcc_lo, s37
	s_delay_alu instid0(SALU_CYCLE_1)
	s_and_saveexec_b32 s37, s100
	s_cbranch_execz .LBB36_111
; %bb.110:                              ;   in Loop: Header=BB36_85 Depth=2
	ds_load_u16 v3, v11 offset:8
	s_waitcnt lgkmcnt(0)
	v_cvt_f32_f16_e32 v3, v3
	s_delay_alu instid0(VALU_DEP_1) | instskip(NEXT) | instid1(VALU_DEP_1)
	v_div_scale_f32 v5, null, 0x42fe0000, 0x42fe0000, v3
	v_rcp_f32_e32 v6, v5
	s_waitcnt_depctr 0xfff
	v_fma_f32 v38, -v5, v6, 1.0
	s_delay_alu instid0(VALU_DEP_1) | instskip(SKIP_1) | instid1(VALU_DEP_1)
	v_fmac_f32_e32 v6, v38, v6
	v_div_scale_f32 v38, vcc_lo, v3, 0x42fe0000, v3
	v_mul_f32_e32 v40, v38, v6
	s_delay_alu instid0(VALU_DEP_1) | instskip(NEXT) | instid1(VALU_DEP_1)
	v_fma_f32 v42, -v5, v40, v38
	v_fmac_f32_e32 v40, v42, v6
	v_bfe_i32 v42, v4, 0, 8
	s_delay_alu instid0(VALU_DEP_2) | instskip(NEXT) | instid1(VALU_DEP_2)
	v_fma_f32 v5, -v5, v40, v38
	v_bfe_i32 v38, v42, 0, 16
	s_delay_alu instid0(VALU_DEP_2) | instskip(NEXT) | instid1(VALU_DEP_2)
	v_div_fmas_f32 v5, v5, v6, v40
	v_cvt_f32_i32_e32 v6, v38
	s_delay_alu instid0(VALU_DEP_2) | instskip(NEXT) | instid1(VALU_DEP_1)
	v_div_fixup_f32 v3, v5, 0x42fe0000, v3
	v_mul_f32_e32 v3, v3, v6
	s_delay_alu instid0(VALU_DEP_1)
	v_fma_mixlo_f16 v38, v3, v37, v51 op_sel_hi:[0,1,1]
.LBB36_111:                             ;   in Loop: Header=BB36_85 Depth=2
	s_or_b32 exec_lo, exec_lo, s37
	s_cbranch_execnz .LBB36_113
.LBB36_112:                             ;   in Loop: Header=BB36_85 Depth=2
	v_bfe_i32 v3, v4, 0, 8
	s_delay_alu instid0(VALU_DEP_1) | instskip(NEXT) | instid1(VALU_DEP_1)
	v_bfe_i32 v3, v3, 0, 16
	v_cvt_f32_i32_e32 v3, v3
	s_delay_alu instid0(VALU_DEP_1)
	v_fma_mixlo_f16 v38, v3, v37, v51 op_sel_hi:[0,1,1]
.LBB36_113:                             ;   in Loop: Header=BB36_85 Depth=2
	v_lshrrev_b32_e32 v3, 8, v4
	s_and_not1_b32 vcc_lo, exec_lo, s43
	s_cbranch_vccnz .LBB36_275
; %bb.114:                              ;   in Loop: Header=BB36_85 Depth=2
	s_delay_alu instid0(VALU_DEP_1) | instskip(SKIP_1) | instid1(VALU_DEP_2)
	v_dual_mov_b32 v40, v49 :: v_dual_and_b32 v5, 0xff, v3
	v_cmp_neq_f16_e64 s37, 0, v37
	v_cmp_ne_u16_e32 vcc_lo, 0, v5
	s_delay_alu instid0(VALU_DEP_2) | instskip(NEXT) | instid1(SALU_CYCLE_1)
	s_and_b32 s100, vcc_lo, s37
	s_and_saveexec_b32 s37, s100
	s_cbranch_execz .LBB36_116
; %bb.115:                              ;   in Loop: Header=BB36_85 Depth=2
	ds_load_u16 v5, v11 offset:10
	s_waitcnt lgkmcnt(0)
	v_cvt_f32_f16_e32 v5, v5
	s_delay_alu instid0(VALU_DEP_1) | instskip(NEXT) | instid1(VALU_DEP_1)
	v_div_scale_f32 v6, null, 0x42fe0000, 0x42fe0000, v5
	v_rcp_f32_e32 v40, v6
	s_waitcnt_depctr 0xfff
	v_fma_f32 v42, -v6, v40, 1.0
	s_delay_alu instid0(VALU_DEP_1) | instskip(SKIP_1) | instid1(VALU_DEP_1)
	v_fmac_f32_e32 v40, v42, v40
	v_div_scale_f32 v42, vcc_lo, v5, 0x42fe0000, v5
	v_mul_f32_e32 v44, v42, v40
	s_delay_alu instid0(VALU_DEP_1) | instskip(NEXT) | instid1(VALU_DEP_1)
	v_fma_f32 v51, -v6, v44, v42
	v_fmac_f32_e32 v44, v51, v40
	v_bfe_i32 v51, v3, 0, 8
	s_delay_alu instid0(VALU_DEP_2) | instskip(NEXT) | instid1(VALU_DEP_2)
	v_fma_f32 v6, -v6, v44, v42
	v_bfe_i32 v42, v51, 0, 16
	s_delay_alu instid0(VALU_DEP_2) | instskip(NEXT) | instid1(VALU_DEP_2)
	v_div_fmas_f32 v6, v6, v40, v44
	v_cvt_f32_i32_e32 v40, v42
	s_delay_alu instid0(VALU_DEP_2) | instskip(NEXT) | instid1(VALU_DEP_1)
	v_div_fixup_f32 v5, v6, 0x42fe0000, v5
	v_mul_f32_e32 v5, v5, v40
	s_delay_alu instid0(VALU_DEP_1)
	v_fma_mixlo_f16 v40, v5, v37, v49 op_sel_hi:[0,1,1]
.LBB36_116:                             ;   in Loop: Header=BB36_85 Depth=2
	s_or_b32 exec_lo, exec_lo, s37
	s_cbranch_execnz .LBB36_118
.LBB36_117:                             ;   in Loop: Header=BB36_85 Depth=2
	s_delay_alu instid0(VALU_DEP_1) | instskip(NEXT) | instid1(VALU_DEP_1)
	v_bfe_i32 v3, v3, 0, 8
	v_bfe_i32 v3, v3, 0, 16
	s_delay_alu instid0(VALU_DEP_1) | instskip(NEXT) | instid1(VALU_DEP_1)
	v_cvt_f32_i32_e32 v3, v3
	v_fma_mixlo_f16 v40, v3, v37, v49 op_sel_hi:[0,1,1]
.LBB36_118:                             ;   in Loop: Header=BB36_85 Depth=2
	v_lshrrev_b32_e32 v3, 16, v4
	s_and_not1_b32 vcc_lo, exec_lo, s43
	s_cbranch_vccnz .LBB36_276
; %bb.119:                              ;   in Loop: Header=BB36_85 Depth=2
	s_delay_alu instid0(VALU_DEP_1) | instskip(SKIP_1) | instid1(VALU_DEP_2)
	v_dual_mov_b32 v42, v47 :: v_dual_and_b32 v5, 0xff, v3
	v_cmp_neq_f16_e64 s37, 0, v37
	v_cmp_ne_u16_e32 vcc_lo, 0, v5
	s_delay_alu instid0(VALU_DEP_2) | instskip(NEXT) | instid1(SALU_CYCLE_1)
	s_and_b32 s100, vcc_lo, s37
	s_and_saveexec_b32 s37, s100
	s_cbranch_execz .LBB36_121
; %bb.120:                              ;   in Loop: Header=BB36_85 Depth=2
	ds_load_u16 v5, v11 offset:12
	s_waitcnt lgkmcnt(0)
	v_cvt_f32_f16_e32 v5, v5
	s_delay_alu instid0(VALU_DEP_1) | instskip(NEXT) | instid1(VALU_DEP_1)
	v_div_scale_f32 v6, null, 0x42fe0000, 0x42fe0000, v5
	v_rcp_f32_e32 v42, v6
	s_waitcnt_depctr 0xfff
	v_fma_f32 v44, -v6, v42, 1.0
	s_delay_alu instid0(VALU_DEP_1) | instskip(SKIP_1) | instid1(VALU_DEP_1)
	v_fmac_f32_e32 v42, v44, v42
	v_div_scale_f32 v44, vcc_lo, v5, 0x42fe0000, v5
	v_mul_f32_e32 v49, v44, v42
	s_delay_alu instid0(VALU_DEP_1) | instskip(NEXT) | instid1(VALU_DEP_1)
	v_fma_f32 v51, -v6, v49, v44
	v_fmac_f32_e32 v49, v51, v42
	v_bfe_i32 v51, v3, 0, 8
	s_delay_alu instid0(VALU_DEP_2) | instskip(NEXT) | instid1(VALU_DEP_2)
	v_fma_f32 v6, -v6, v49, v44
	v_bfe_i32 v44, v51, 0, 16
	s_delay_alu instid0(VALU_DEP_2) | instskip(NEXT) | instid1(VALU_DEP_2)
	v_div_fmas_f32 v6, v6, v42, v49
	v_cvt_f32_i32_e32 v42, v44
	s_delay_alu instid0(VALU_DEP_2) | instskip(NEXT) | instid1(VALU_DEP_1)
	v_div_fixup_f32 v5, v6, 0x42fe0000, v5
	v_mul_f32_e32 v5, v5, v42
	s_delay_alu instid0(VALU_DEP_1)
	v_fma_mixlo_f16 v42, v5, v37, v47 op_sel_hi:[0,1,1]
.LBB36_121:                             ;   in Loop: Header=BB36_85 Depth=2
	s_or_b32 exec_lo, exec_lo, s37
	s_cbranch_execnz .LBB36_123
.LBB36_122:                             ;   in Loop: Header=BB36_85 Depth=2
	s_delay_alu instid0(VALU_DEP_1) | instskip(NEXT) | instid1(VALU_DEP_1)
	v_bfe_i32 v3, v3, 0, 8
	v_bfe_i32 v3, v3, 0, 16
	s_delay_alu instid0(VALU_DEP_1) | instskip(NEXT) | instid1(VALU_DEP_1)
	v_cvt_f32_i32_e32 v3, v3
	v_fma_mixlo_f16 v42, v3, v37, v47 op_sel_hi:[0,1,1]
.LBB36_123:                             ;   in Loop: Header=BB36_85 Depth=2
	v_lshrrev_b32_e32 v3, 24, v4
	s_and_not1_b32 vcc_lo, exec_lo, s43
	s_cbranch_vccnz .LBB36_277
; %bb.124:                              ;   in Loop: Header=BB36_85 Depth=2
	s_delay_alu instid0(VALU_DEP_1) | instskip(SKIP_2) | instid1(VALU_DEP_2)
	v_cmp_ne_u16_e32 vcc_lo, 0, v3
	v_cmp_neq_f16_e64 s37, 0, v37
	v_mov_b32_e32 v44, v45
	s_and_b32 s100, vcc_lo, s37
	s_delay_alu instid0(SALU_CYCLE_1)
	s_and_saveexec_b32 s37, s100
	s_cbranch_execz .LBB36_126
; %bb.125:                              ;   in Loop: Header=BB36_85 Depth=2
	ds_load_u16 v4, v11 offset:14
	s_waitcnt lgkmcnt(0)
	v_cvt_f32_f16_e32 v4, v4
	s_delay_alu instid0(VALU_DEP_1) | instskip(NEXT) | instid1(VALU_DEP_1)
	v_div_scale_f32 v5, null, 0x42fe0000, 0x42fe0000, v4
	v_rcp_f32_e32 v6, v5
	s_waitcnt_depctr 0xfff
	v_fma_f32 v44, -v5, v6, 1.0
	s_delay_alu instid0(VALU_DEP_1) | instskip(SKIP_1) | instid1(VALU_DEP_1)
	v_fmac_f32_e32 v6, v44, v6
	v_div_scale_f32 v44, vcc_lo, v4, 0x42fe0000, v4
	v_mul_f32_e32 v47, v44, v6
	s_delay_alu instid0(VALU_DEP_1) | instskip(NEXT) | instid1(VALU_DEP_1)
	v_fma_f32 v49, -v5, v47, v44
	v_fmac_f32_e32 v47, v49, v6
	v_bfe_i32 v49, v3, 0, 8
	s_delay_alu instid0(VALU_DEP_2) | instskip(NEXT) | instid1(VALU_DEP_2)
	v_fma_f32 v5, -v5, v47, v44
	v_bfe_i32 v44, v49, 0, 16
	s_delay_alu instid0(VALU_DEP_2) | instskip(NEXT) | instid1(VALU_DEP_2)
	v_div_fmas_f32 v5, v5, v6, v47
	v_cvt_f32_i32_e32 v6, v44
	s_delay_alu instid0(VALU_DEP_2) | instskip(NEXT) | instid1(VALU_DEP_1)
	v_div_fixup_f32 v4, v5, 0x42fe0000, v4
	v_mul_f32_e32 v4, v4, v6
	s_delay_alu instid0(VALU_DEP_1)
	v_fma_mixlo_f16 v44, v4, v37, v45 op_sel_hi:[0,1,1]
.LBB36_126:                             ;   in Loop: Header=BB36_85 Depth=2
	s_or_b32 exec_lo, exec_lo, s37
	s_cbranch_execnz .LBB36_128
.LBB36_127:                             ;   in Loop: Header=BB36_85 Depth=2
	s_delay_alu instid0(VALU_DEP_1) | instskip(NEXT) | instid1(VALU_DEP_1)
	v_bfe_i32 v3, v3, 0, 8
	v_bfe_i32 v3, v3, 0, 16
	s_delay_alu instid0(VALU_DEP_1) | instskip(NEXT) | instid1(VALU_DEP_1)
	v_cvt_f32_i32_e32 v3, v3
	v_fma_mixlo_f16 v44, v3, v37, v45 op_sel_hi:[0,1,1]
.LBB36_128:                             ;   in Loop: Header=BB36_85 Depth=2
	s_and_saveexec_b32 s100, s6
	s_cbranch_execz .LBB36_83
; %bb.129:                              ;   in Loop: Header=BB36_85 Depth=2
                                        ; implicit-def: $vgpr3_vgpr4
	s_and_saveexec_b32 s37, s1
	s_delay_alu instid0(SALU_CYCLE_1)
	s_xor_b32 s37, exec_lo, s37
	s_cbranch_execnz .LBB36_278
; %bb.130:                              ;   in Loop: Header=BB36_85 Depth=2
	s_and_not1_saveexec_b32 s37, s37
	s_cbranch_execnz .LBB36_291
.LBB36_131:                             ;   in Loop: Header=BB36_85 Depth=2
	s_or_b32 exec_lo, exec_lo, s37
	s_delay_alu instid0(SALU_CYCLE_1)
	s_and_not1_b32 vcc_lo, exec_lo, s43
	s_cbranch_vccnz .LBB36_292
.LBB36_132:                             ;   in Loop: Header=BB36_85 Depth=2
	s_waitcnt vmcnt(0)
	v_and_b32_e32 v5, 0xff, v3
	v_cmp_neq_f16_e64 s37, 0, v37
	v_mov_b32_e32 v45, v61
	s_delay_alu instid0(VALU_DEP_3) | instskip(NEXT) | instid1(VALU_DEP_3)
	v_cmp_ne_u16_e32 vcc_lo, 0, v5
	s_and_b32 s101, vcc_lo, s37
	s_delay_alu instid0(SALU_CYCLE_1)
	s_and_saveexec_b32 s37, s101
	s_cbranch_execz .LBB36_134
; %bb.133:                              ;   in Loop: Header=BB36_85 Depth=2
	ds_load_u16 v5, v11 offset:16
	s_waitcnt lgkmcnt(0)
	v_cvt_f32_f16_e32 v5, v5
	s_delay_alu instid0(VALU_DEP_1) | instskip(NEXT) | instid1(VALU_DEP_1)
	v_div_scale_f32 v6, null, 0x42fe0000, 0x42fe0000, v5
	v_rcp_f32_e32 v45, v6
	s_waitcnt_depctr 0xfff
	v_fma_f32 v47, -v6, v45, 1.0
	s_delay_alu instid0(VALU_DEP_1) | instskip(SKIP_1) | instid1(VALU_DEP_1)
	v_fmac_f32_e32 v45, v47, v45
	v_div_scale_f32 v47, vcc_lo, v5, 0x42fe0000, v5
	v_mul_f32_e32 v49, v47, v45
	s_delay_alu instid0(VALU_DEP_1) | instskip(NEXT) | instid1(VALU_DEP_1)
	v_fma_f32 v51, -v6, v49, v47
	v_fmac_f32_e32 v49, v51, v45
	v_bfe_i32 v51, v3, 0, 8
	s_delay_alu instid0(VALU_DEP_2) | instskip(NEXT) | instid1(VALU_DEP_2)
	v_fma_f32 v6, -v6, v49, v47
	v_bfe_i32 v47, v51, 0, 16
	s_delay_alu instid0(VALU_DEP_2) | instskip(NEXT) | instid1(VALU_DEP_2)
	v_div_fmas_f32 v6, v6, v45, v49
	v_cvt_f32_i32_e32 v45, v47
	s_delay_alu instid0(VALU_DEP_2) | instskip(NEXT) | instid1(VALU_DEP_1)
	v_div_fixup_f32 v5, v6, 0x42fe0000, v5
	v_mul_f32_e32 v5, v5, v45
	s_delay_alu instid0(VALU_DEP_1)
	v_fma_mixlo_f16 v45, v5, v37, v61 op_sel_hi:[0,1,1]
.LBB36_134:                             ;   in Loop: Header=BB36_85 Depth=2
	s_or_b32 exec_lo, exec_lo, s37
	s_cbranch_execnz .LBB36_136
.LBB36_135:                             ;   in Loop: Header=BB36_85 Depth=2
	s_waitcnt vmcnt(0)
	v_bfe_i32 v5, v3, 0, 8
	s_delay_alu instid0(VALU_DEP_1) | instskip(NEXT) | instid1(VALU_DEP_1)
	v_bfe_i32 v5, v5, 0, 16
	v_cvt_f32_i32_e32 v5, v5
	s_delay_alu instid0(VALU_DEP_1)
	v_fma_mixlo_f16 v45, v5, v37, v61 op_sel_hi:[0,1,1]
.LBB36_136:                             ;   in Loop: Header=BB36_85 Depth=2
	s_waitcnt vmcnt(0)
	v_lshrrev_b32_e32 v5, 8, v3
	s_and_not1_b32 vcc_lo, exec_lo, s43
	s_cbranch_vccnz .LBB36_295
; %bb.137:                              ;   in Loop: Header=BB36_85 Depth=2
	s_delay_alu instid0(VALU_DEP_1) | instskip(SKIP_1) | instid1(VALU_DEP_2)
	v_dual_mov_b32 v47, v60 :: v_dual_and_b32 v6, 0xff, v5
	v_cmp_neq_f16_e64 s37, 0, v37
	v_cmp_ne_u16_e32 vcc_lo, 0, v6
	s_delay_alu instid0(VALU_DEP_2) | instskip(NEXT) | instid1(SALU_CYCLE_1)
	s_and_b32 s101, vcc_lo, s37
	s_and_saveexec_b32 s37, s101
	s_cbranch_execz .LBB36_139
; %bb.138:                              ;   in Loop: Header=BB36_85 Depth=2
	ds_load_u16 v6, v11 offset:18
	s_waitcnt lgkmcnt(0)
	v_cvt_f32_f16_e32 v6, v6
	s_delay_alu instid0(VALU_DEP_1) | instskip(NEXT) | instid1(VALU_DEP_1)
	v_div_scale_f32 v47, null, 0x42fe0000, 0x42fe0000, v6
	v_rcp_f32_e32 v49, v47
	s_waitcnt_depctr 0xfff
	v_fma_f32 v51, -v47, v49, 1.0
	s_delay_alu instid0(VALU_DEP_1) | instskip(SKIP_1) | instid1(VALU_DEP_1)
	v_fmac_f32_e32 v49, v51, v49
	v_div_scale_f32 v51, vcc_lo, v6, 0x42fe0000, v6
	v_mul_f32_e32 v53, v51, v49
	s_delay_alu instid0(VALU_DEP_1) | instskip(NEXT) | instid1(VALU_DEP_1)
	v_fma_f32 v54, -v47, v53, v51
	v_fmac_f32_e32 v53, v54, v49
	v_bfe_i32 v54, v5, 0, 8
	s_delay_alu instid0(VALU_DEP_2) | instskip(NEXT) | instid1(VALU_DEP_2)
	v_fma_f32 v47, -v47, v53, v51
	v_bfe_i32 v51, v54, 0, 16
	s_delay_alu instid0(VALU_DEP_2) | instskip(NEXT) | instid1(VALU_DEP_2)
	v_div_fmas_f32 v47, v47, v49, v53
	v_cvt_f32_i32_e32 v49, v51
	s_delay_alu instid0(VALU_DEP_2) | instskip(NEXT) | instid1(VALU_DEP_1)
	v_div_fixup_f32 v6, v47, 0x42fe0000, v6
	v_mul_f32_e32 v6, v6, v49
	s_delay_alu instid0(VALU_DEP_1)
	v_fma_mixlo_f16 v47, v6, v37, v60 op_sel_hi:[0,1,1]
.LBB36_139:                             ;   in Loop: Header=BB36_85 Depth=2
	s_or_b32 exec_lo, exec_lo, s37
	s_cbranch_execnz .LBB36_141
.LBB36_140:                             ;   in Loop: Header=BB36_85 Depth=2
	s_delay_alu instid0(VALU_DEP_1) | instskip(NEXT) | instid1(VALU_DEP_1)
	v_bfe_i32 v5, v5, 0, 8
	v_bfe_i32 v5, v5, 0, 16
	s_delay_alu instid0(VALU_DEP_1) | instskip(NEXT) | instid1(VALU_DEP_1)
	v_cvt_f32_i32_e32 v5, v5
	v_fma_mixlo_f16 v47, v5, v37, v60 op_sel_hi:[0,1,1]
.LBB36_141:                             ;   in Loop: Header=BB36_85 Depth=2
	v_lshrrev_b32_e32 v5, 16, v3
	s_and_not1_b32 vcc_lo, exec_lo, s43
	s_cbranch_vccnz .LBB36_296
; %bb.142:                              ;   in Loop: Header=BB36_85 Depth=2
	s_delay_alu instid0(VALU_DEP_1) | instskip(SKIP_1) | instid1(VALU_DEP_2)
	v_dual_mov_b32 v49, v59 :: v_dual_and_b32 v6, 0xff, v5
	v_cmp_neq_f16_e64 s37, 0, v37
	v_cmp_ne_u16_e32 vcc_lo, 0, v6
	s_delay_alu instid0(VALU_DEP_2) | instskip(NEXT) | instid1(SALU_CYCLE_1)
	s_and_b32 s101, vcc_lo, s37
	s_and_saveexec_b32 s37, s101
	s_cbranch_execz .LBB36_144
; %bb.143:                              ;   in Loop: Header=BB36_85 Depth=2
	ds_load_u16 v6, v11 offset:20
	s_waitcnt lgkmcnt(0)
	v_cvt_f32_f16_e32 v6, v6
	s_delay_alu instid0(VALU_DEP_1) | instskip(NEXT) | instid1(VALU_DEP_1)
	v_div_scale_f32 v49, null, 0x42fe0000, 0x42fe0000, v6
	v_rcp_f32_e32 v51, v49
	s_waitcnt_depctr 0xfff
	v_fma_f32 v53, -v49, v51, 1.0
	s_delay_alu instid0(VALU_DEP_1) | instskip(SKIP_1) | instid1(VALU_DEP_1)
	v_fmac_f32_e32 v51, v53, v51
	v_div_scale_f32 v53, vcc_lo, v6, 0x42fe0000, v6
	v_mul_f32_e32 v54, v53, v51
	s_delay_alu instid0(VALU_DEP_1) | instskip(NEXT) | instid1(VALU_DEP_1)
	v_fma_f32 v56, -v49, v54, v53
	v_fmac_f32_e32 v54, v56, v51
	v_bfe_i32 v56, v5, 0, 8
	s_delay_alu instid0(VALU_DEP_2) | instskip(NEXT) | instid1(VALU_DEP_2)
	v_fma_f32 v49, -v49, v54, v53
	v_bfe_i32 v53, v56, 0, 16
	s_delay_alu instid0(VALU_DEP_2) | instskip(NEXT) | instid1(VALU_DEP_2)
	v_div_fmas_f32 v49, v49, v51, v54
	v_cvt_f32_i32_e32 v51, v53
	s_delay_alu instid0(VALU_DEP_2) | instskip(NEXT) | instid1(VALU_DEP_1)
	v_div_fixup_f32 v6, v49, 0x42fe0000, v6
	v_mul_f32_e32 v6, v6, v51
	s_delay_alu instid0(VALU_DEP_1)
	v_fma_mixlo_f16 v49, v6, v37, v59 op_sel_hi:[0,1,1]
.LBB36_144:                             ;   in Loop: Header=BB36_85 Depth=2
	s_or_b32 exec_lo, exec_lo, s37
	s_cbranch_execnz .LBB36_146
.LBB36_145:                             ;   in Loop: Header=BB36_85 Depth=2
	s_delay_alu instid0(VALU_DEP_1) | instskip(NEXT) | instid1(VALU_DEP_1)
	v_bfe_i32 v5, v5, 0, 8
	v_bfe_i32 v5, v5, 0, 16
	s_delay_alu instid0(VALU_DEP_1) | instskip(NEXT) | instid1(VALU_DEP_1)
	v_cvt_f32_i32_e32 v5, v5
	v_fma_mixlo_f16 v49, v5, v37, v59 op_sel_hi:[0,1,1]
.LBB36_146:                             ;   in Loop: Header=BB36_85 Depth=2
	s_and_not1_b32 vcc_lo, exec_lo, s43
	s_cbranch_vccnz .LBB36_297
; %bb.147:                              ;   in Loop: Header=BB36_85 Depth=2
	v_lshrrev_b64 v[5:6], 24, v[3:4]
	v_cmp_neq_f16_e64 s37, 0, v37
	s_delay_alu instid0(VALU_DEP_2) | instskip(NEXT) | instid1(VALU_DEP_1)
	v_dual_mov_b32 v51, v57 :: v_dual_and_b32 v6, 0xff, v5
	v_cmp_ne_u16_e32 vcc_lo, 0, v6
	s_delay_alu instid0(VALU_DEP_3) | instskip(NEXT) | instid1(SALU_CYCLE_1)
	s_and_b32 s101, vcc_lo, s37
	s_and_saveexec_b32 s37, s101
	s_cbranch_execz .LBB36_149
; %bb.148:                              ;   in Loop: Header=BB36_85 Depth=2
	ds_load_u16 v6, v11 offset:22
	v_bfe_i32 v5, v5, 0, 8
	s_delay_alu instid0(VALU_DEP_1) | instskip(NEXT) | instid1(VALU_DEP_1)
	v_bfe_i32 v5, v5, 0, 16
	v_cvt_f32_i32_e32 v5, v5
	s_waitcnt lgkmcnt(0)
	v_cvt_f32_f16_e32 v6, v6
	s_delay_alu instid0(VALU_DEP_1) | instskip(NEXT) | instid1(VALU_DEP_1)
	v_div_scale_f32 v51, null, 0x42fe0000, 0x42fe0000, v6
	v_rcp_f32_e32 v53, v51
	s_waitcnt_depctr 0xfff
	v_fma_f32 v54, -v51, v53, 1.0
	s_delay_alu instid0(VALU_DEP_1) | instskip(SKIP_1) | instid1(VALU_DEP_1)
	v_fmac_f32_e32 v53, v54, v53
	v_div_scale_f32 v54, vcc_lo, v6, 0x42fe0000, v6
	v_mul_f32_e32 v56, v54, v53
	s_delay_alu instid0(VALU_DEP_1) | instskip(NEXT) | instid1(VALU_DEP_1)
	v_fma_f32 v58, -v51, v56, v54
	v_fmac_f32_e32 v56, v58, v53
	s_delay_alu instid0(VALU_DEP_1) | instskip(NEXT) | instid1(VALU_DEP_1)
	v_fma_f32 v51, -v51, v56, v54
	v_div_fmas_f32 v51, v51, v53, v56
	s_delay_alu instid0(VALU_DEP_1) | instskip(NEXT) | instid1(VALU_DEP_1)
	v_div_fixup_f32 v6, v51, 0x42fe0000, v6
	v_mul_f32_e32 v5, v6, v5
	s_delay_alu instid0(VALU_DEP_1)
	v_fma_mixlo_f16 v51, v5, v37, v57 op_sel_hi:[0,1,1]
.LBB36_149:                             ;   in Loop: Header=BB36_85 Depth=2
	s_or_b32 exec_lo, exec_lo, s37
	s_cbranch_execnz .LBB36_151
.LBB36_150:                             ;   in Loop: Header=BB36_85 Depth=2
	v_lshrrev_b32_e32 v3, 24, v3
	s_delay_alu instid0(VALU_DEP_1) | instskip(NEXT) | instid1(VALU_DEP_1)
	v_bfe_i32 v3, v3, 0, 8
	v_bfe_i32 v3, v3, 0, 16
	s_delay_alu instid0(VALU_DEP_1) | instskip(NEXT) | instid1(VALU_DEP_1)
	v_cvt_f32_i32_e32 v3, v3
	v_fma_mixlo_f16 v51, v3, v37, v57 op_sel_hi:[0,1,1]
.LBB36_151:                             ;   in Loop: Header=BB36_85 Depth=2
	s_and_not1_b32 vcc_lo, exec_lo, s43
	s_cbranch_vccnz .LBB36_298
; %bb.152:                              ;   in Loop: Header=BB36_85 Depth=2
	v_and_b32_e32 v3, 0xff, v4
	v_cmp_neq_f16_e64 s37, 0, v37
	v_mov_b32_e32 v53, v55
	s_delay_alu instid0(VALU_DEP_3) | instskip(NEXT) | instid1(VALU_DEP_3)
	v_cmp_ne_u16_e32 vcc_lo, 0, v3
	s_and_b32 s101, vcc_lo, s37
	s_delay_alu instid0(SALU_CYCLE_1)
	s_and_saveexec_b32 s37, s101
	s_cbranch_execz .LBB36_154
; %bb.153:                              ;   in Loop: Header=BB36_85 Depth=2
	ds_load_u16 v3, v11 offset:24
	s_waitcnt lgkmcnt(0)
	v_cvt_f32_f16_e32 v3, v3
	s_delay_alu instid0(VALU_DEP_1) | instskip(NEXT) | instid1(VALU_DEP_1)
	v_div_scale_f32 v5, null, 0x42fe0000, 0x42fe0000, v3
	v_rcp_f32_e32 v6, v5
	s_waitcnt_depctr 0xfff
	v_fma_f32 v53, -v5, v6, 1.0
	s_delay_alu instid0(VALU_DEP_1) | instskip(SKIP_1) | instid1(VALU_DEP_1)
	v_fmac_f32_e32 v6, v53, v6
	v_div_scale_f32 v53, vcc_lo, v3, 0x42fe0000, v3
	v_mul_f32_e32 v54, v53, v6
	s_delay_alu instid0(VALU_DEP_1) | instskip(NEXT) | instid1(VALU_DEP_1)
	v_fma_f32 v56, -v5, v54, v53
	v_fmac_f32_e32 v54, v56, v6
	v_bfe_i32 v56, v4, 0, 8
	s_delay_alu instid0(VALU_DEP_2) | instskip(NEXT) | instid1(VALU_DEP_2)
	v_fma_f32 v5, -v5, v54, v53
	v_bfe_i32 v53, v56, 0, 16
	s_delay_alu instid0(VALU_DEP_2) | instskip(NEXT) | instid1(VALU_DEP_2)
	v_div_fmas_f32 v5, v5, v6, v54
	v_cvt_f32_i32_e32 v6, v53
	s_delay_alu instid0(VALU_DEP_2) | instskip(NEXT) | instid1(VALU_DEP_1)
	v_div_fixup_f32 v3, v5, 0x42fe0000, v3
	v_mul_f32_e32 v3, v3, v6
	s_delay_alu instid0(VALU_DEP_1)
	v_fma_mixlo_f16 v53, v3, v37, v55 op_sel_hi:[0,1,1]
.LBB36_154:                             ;   in Loop: Header=BB36_85 Depth=2
	s_or_b32 exec_lo, exec_lo, s37
	s_cbranch_execnz .LBB36_156
.LBB36_155:                             ;   in Loop: Header=BB36_85 Depth=2
	v_bfe_i32 v3, v4, 0, 8
	s_delay_alu instid0(VALU_DEP_1) | instskip(NEXT) | instid1(VALU_DEP_1)
	v_bfe_i32 v3, v3, 0, 16
	v_cvt_f32_i32_e32 v3, v3
	s_delay_alu instid0(VALU_DEP_1)
	v_fma_mixlo_f16 v53, v3, v37, v55 op_sel_hi:[0,1,1]
.LBB36_156:                             ;   in Loop: Header=BB36_85 Depth=2
	v_lshrrev_b32_e32 v3, 8, v4
	s_and_not1_b32 vcc_lo, exec_lo, s43
	s_cbranch_vccnz .LBB36_299
; %bb.157:                              ;   in Loop: Header=BB36_85 Depth=2
	s_delay_alu instid0(VALU_DEP_1) | instskip(SKIP_1) | instid1(VALU_DEP_2)
	v_dual_mov_b32 v54, v52 :: v_dual_and_b32 v5, 0xff, v3
	v_cmp_neq_f16_e64 s37, 0, v37
	v_cmp_ne_u16_e32 vcc_lo, 0, v5
	s_delay_alu instid0(VALU_DEP_2) | instskip(NEXT) | instid1(SALU_CYCLE_1)
	s_and_b32 s101, vcc_lo, s37
	s_and_saveexec_b32 s37, s101
	s_cbranch_execz .LBB36_159
; %bb.158:                              ;   in Loop: Header=BB36_85 Depth=2
	ds_load_u16 v5, v11 offset:26
	s_waitcnt lgkmcnt(0)
	v_cvt_f32_f16_e32 v5, v5
	s_delay_alu instid0(VALU_DEP_1) | instskip(NEXT) | instid1(VALU_DEP_1)
	v_div_scale_f32 v6, null, 0x42fe0000, 0x42fe0000, v5
	v_rcp_f32_e32 v54, v6
	s_waitcnt_depctr 0xfff
	v_fma_f32 v55, -v6, v54, 1.0
	s_delay_alu instid0(VALU_DEP_1) | instskip(SKIP_1) | instid1(VALU_DEP_1)
	v_fmac_f32_e32 v54, v55, v54
	v_div_scale_f32 v55, vcc_lo, v5, 0x42fe0000, v5
	v_mul_f32_e32 v56, v55, v54
	s_delay_alu instid0(VALU_DEP_1) | instskip(NEXT) | instid1(VALU_DEP_1)
	v_fma_f32 v57, -v6, v56, v55
	v_fmac_f32_e32 v56, v57, v54
	v_bfe_i32 v57, v3, 0, 8
	s_delay_alu instid0(VALU_DEP_2) | instskip(NEXT) | instid1(VALU_DEP_2)
	v_fma_f32 v6, -v6, v56, v55
	v_bfe_i32 v55, v57, 0, 16
	s_delay_alu instid0(VALU_DEP_2) | instskip(NEXT) | instid1(VALU_DEP_2)
	v_div_fmas_f32 v6, v6, v54, v56
	v_cvt_f32_i32_e32 v54, v55
	s_delay_alu instid0(VALU_DEP_2) | instskip(NEXT) | instid1(VALU_DEP_1)
	v_div_fixup_f32 v5, v6, 0x42fe0000, v5
	v_mul_f32_e32 v5, v5, v54
	s_delay_alu instid0(VALU_DEP_1)
	v_fma_mixlo_f16 v54, v5, v37, v52 op_sel_hi:[0,1,1]
.LBB36_159:                             ;   in Loop: Header=BB36_85 Depth=2
	s_or_b32 exec_lo, exec_lo, s37
	s_cbranch_execnz .LBB36_161
.LBB36_160:                             ;   in Loop: Header=BB36_85 Depth=2
	s_delay_alu instid0(VALU_DEP_1) | instskip(NEXT) | instid1(VALU_DEP_1)
	v_bfe_i32 v3, v3, 0, 8
	v_bfe_i32 v3, v3, 0, 16
	s_delay_alu instid0(VALU_DEP_1) | instskip(NEXT) | instid1(VALU_DEP_1)
	v_cvt_f32_i32_e32 v3, v3
	v_fma_mixlo_f16 v54, v3, v37, v52 op_sel_hi:[0,1,1]
.LBB36_161:                             ;   in Loop: Header=BB36_85 Depth=2
	v_lshrrev_b32_e32 v3, 16, v4
	s_and_not1_b32 vcc_lo, exec_lo, s43
	s_cbranch_vccnz .LBB36_300
; %bb.162:                              ;   in Loop: Header=BB36_85 Depth=2
	s_delay_alu instid0(VALU_DEP_1) | instskip(SKIP_1) | instid1(VALU_DEP_2)
	v_dual_mov_b32 v56, v50 :: v_dual_and_b32 v5, 0xff, v3
	v_cmp_neq_f16_e64 s37, 0, v37
	v_cmp_ne_u16_e32 vcc_lo, 0, v5
	s_delay_alu instid0(VALU_DEP_2) | instskip(NEXT) | instid1(SALU_CYCLE_1)
	s_and_b32 s101, vcc_lo, s37
	s_and_saveexec_b32 s37, s101
	s_cbranch_execz .LBB36_164
; %bb.163:                              ;   in Loop: Header=BB36_85 Depth=2
	ds_load_u16 v5, v11 offset:28
	s_waitcnt lgkmcnt(0)
	v_cvt_f32_f16_e32 v5, v5
	s_delay_alu instid0(VALU_DEP_1) | instskip(NEXT) | instid1(VALU_DEP_1)
	v_div_scale_f32 v6, null, 0x42fe0000, 0x42fe0000, v5
	v_rcp_f32_e32 v52, v6
	s_waitcnt_depctr 0xfff
	v_fma_f32 v55, -v6, v52, 1.0
	s_delay_alu instid0(VALU_DEP_1) | instskip(SKIP_1) | instid1(VALU_DEP_1)
	v_fmac_f32_e32 v52, v55, v52
	v_div_scale_f32 v55, vcc_lo, v5, 0x42fe0000, v5
	v_mul_f32_e32 v56, v55, v52
	s_delay_alu instid0(VALU_DEP_1) | instskip(NEXT) | instid1(VALU_DEP_1)
	v_fma_f32 v57, -v6, v56, v55
	v_fmac_f32_e32 v56, v57, v52
	v_bfe_i32 v57, v3, 0, 8
	s_delay_alu instid0(VALU_DEP_2) | instskip(NEXT) | instid1(VALU_DEP_2)
	v_fma_f32 v6, -v6, v56, v55
	v_bfe_i32 v55, v57, 0, 16
	s_delay_alu instid0(VALU_DEP_2) | instskip(NEXT) | instid1(VALU_DEP_2)
	v_div_fmas_f32 v6, v6, v52, v56
	v_cvt_f32_i32_e32 v52, v55
	s_delay_alu instid0(VALU_DEP_2) | instskip(NEXT) | instid1(VALU_DEP_1)
	v_div_fixup_f32 v5, v6, 0x42fe0000, v5
	v_mul_f32_e32 v5, v5, v52
	s_delay_alu instid0(VALU_DEP_1)
	v_fma_mixlo_f16 v56, v5, v37, v50 op_sel_hi:[0,1,1]
.LBB36_164:                             ;   in Loop: Header=BB36_85 Depth=2
	s_or_b32 exec_lo, exec_lo, s37
	s_cbranch_execnz .LBB36_166
.LBB36_165:                             ;   in Loop: Header=BB36_85 Depth=2
	s_delay_alu instid0(VALU_DEP_1) | instskip(NEXT) | instid1(VALU_DEP_1)
	v_bfe_i32 v3, v3, 0, 8
	v_bfe_i32 v3, v3, 0, 16
	s_delay_alu instid0(VALU_DEP_1) | instskip(NEXT) | instid1(VALU_DEP_1)
	v_cvt_f32_i32_e32 v3, v3
	v_fma_mixlo_f16 v56, v3, v37, v50 op_sel_hi:[0,1,1]
.LBB36_166:                             ;   in Loop: Header=BB36_85 Depth=2
	v_lshrrev_b32_e32 v3, 24, v4
	s_and_not1_b32 vcc_lo, exec_lo, s43
	s_cbranch_vccnz .LBB36_301
; %bb.167:                              ;   in Loop: Header=BB36_85 Depth=2
	s_delay_alu instid0(VALU_DEP_1) | instskip(SKIP_2) | instid1(VALU_DEP_2)
	v_cmp_ne_u16_e32 vcc_lo, 0, v3
	v_cmp_neq_f16_e64 s37, 0, v37
	v_mov_b32_e32 v58, v48
	s_and_b32 s101, vcc_lo, s37
	s_delay_alu instid0(SALU_CYCLE_1)
	s_and_saveexec_b32 s37, s101
	s_cbranch_execz .LBB36_169
; %bb.168:                              ;   in Loop: Header=BB36_85 Depth=2
	ds_load_u16 v4, v11 offset:30
	s_waitcnt lgkmcnt(0)
	v_cvt_f32_f16_e32 v4, v4
	s_delay_alu instid0(VALU_DEP_1) | instskip(NEXT) | instid1(VALU_DEP_1)
	v_div_scale_f32 v5, null, 0x42fe0000, 0x42fe0000, v4
	v_rcp_f32_e32 v6, v5
	s_waitcnt_depctr 0xfff
	v_fma_f32 v50, -v5, v6, 1.0
	s_delay_alu instid0(VALU_DEP_1) | instskip(SKIP_1) | instid1(VALU_DEP_1)
	v_fmac_f32_e32 v6, v50, v6
	v_div_scale_f32 v50, vcc_lo, v4, 0x42fe0000, v4
	v_mul_f32_e32 v52, v50, v6
	s_delay_alu instid0(VALU_DEP_1) | instskip(NEXT) | instid1(VALU_DEP_1)
	v_fma_f32 v55, -v5, v52, v50
	v_fmac_f32_e32 v52, v55, v6
	v_bfe_i32 v55, v3, 0, 8
	s_delay_alu instid0(VALU_DEP_2) | instskip(NEXT) | instid1(VALU_DEP_2)
	v_fma_f32 v5, -v5, v52, v50
	v_bfe_i32 v50, v55, 0, 16
	s_delay_alu instid0(VALU_DEP_2) | instskip(NEXT) | instid1(VALU_DEP_2)
	v_div_fmas_f32 v5, v5, v6, v52
	v_cvt_f32_i32_e32 v6, v50
	s_delay_alu instid0(VALU_DEP_2) | instskip(NEXT) | instid1(VALU_DEP_1)
	v_div_fixup_f32 v4, v5, 0x42fe0000, v4
	v_mul_f32_e32 v4, v4, v6
	s_delay_alu instid0(VALU_DEP_1)
	v_fma_mixlo_f16 v58, v4, v37, v48 op_sel_hi:[0,1,1]
.LBB36_169:                             ;   in Loop: Header=BB36_85 Depth=2
	s_or_b32 exec_lo, exec_lo, s37
	s_cbranch_execnz .LBB36_171
.LBB36_170:                             ;   in Loop: Header=BB36_85 Depth=2
	s_delay_alu instid0(VALU_DEP_1) | instskip(NEXT) | instid1(VALU_DEP_1)
	v_bfe_i32 v3, v3, 0, 8
	v_bfe_i32 v3, v3, 0, 16
	s_delay_alu instid0(VALU_DEP_1) | instskip(NEXT) | instid1(VALU_DEP_1)
	v_cvt_f32_i32_e32 v3, v3
	v_fma_mixlo_f16 v58, v3, v37, v48 op_sel_hi:[0,1,1]
.LBB36_171:                             ;   in Loop: Header=BB36_85 Depth=2
	s_and_saveexec_b32 s101, s0
	s_cbranch_execz .LBB36_82
; %bb.172:                              ;   in Loop: Header=BB36_85 Depth=2
                                        ; implicit-def: $vgpr3_vgpr4
	s_and_saveexec_b32 s37, s3
	s_delay_alu instid0(SALU_CYCLE_1)
	s_xor_b32 s37, exec_lo, s37
	s_cbranch_execnz .LBB36_302
; %bb.173:                              ;   in Loop: Header=BB36_85 Depth=2
	s_and_not1_saveexec_b32 s37, s37
	s_cbranch_execnz .LBB36_315
.LBB36_174:                             ;   in Loop: Header=BB36_85 Depth=2
	s_or_b32 exec_lo, exec_lo, s37
	s_delay_alu instid0(SALU_CYCLE_1)
	s_and_not1_b32 vcc_lo, exec_lo, s43
	s_cbranch_vccnz .LBB36_316
.LBB36_175:                             ;   in Loop: Header=BB36_85 Depth=2
	s_waitcnt vmcnt(0)
	v_dual_mov_b32 v48, v43 :: v_dual_and_b32 v5, 0xff, v3
	v_cmp_neq_f16_e64 s37, 0, v37
	s_delay_alu instid0(VALU_DEP_2) | instskip(NEXT) | instid1(VALU_DEP_2)
	v_cmp_ne_u16_e32 vcc_lo, 0, v5
	s_and_b32 s102, vcc_lo, s37
	s_delay_alu instid0(SALU_CYCLE_1)
	s_and_saveexec_b32 s37, s102
	s_cbranch_execz .LBB36_177
; %bb.176:                              ;   in Loop: Header=BB36_85 Depth=2
	ds_load_u16 v5, v11 offset:32
	s_waitcnt lgkmcnt(0)
	v_cvt_f32_f16_e32 v5, v5
	s_delay_alu instid0(VALU_DEP_1) | instskip(NEXT) | instid1(VALU_DEP_1)
	v_div_scale_f32 v6, null, 0x42fe0000, 0x42fe0000, v5
	v_rcp_f32_e32 v48, v6
	s_waitcnt_depctr 0xfff
	v_fma_f32 v50, -v6, v48, 1.0
	s_delay_alu instid0(VALU_DEP_1) | instskip(SKIP_1) | instid1(VALU_DEP_1)
	v_fmac_f32_e32 v48, v50, v48
	v_div_scale_f32 v50, vcc_lo, v5, 0x42fe0000, v5
	v_mul_f32_e32 v52, v50, v48
	s_delay_alu instid0(VALU_DEP_1) | instskip(NEXT) | instid1(VALU_DEP_1)
	v_fma_f32 v55, -v6, v52, v50
	v_fmac_f32_e32 v52, v55, v48
	v_bfe_i32 v55, v3, 0, 8
	s_delay_alu instid0(VALU_DEP_2) | instskip(NEXT) | instid1(VALU_DEP_2)
	v_fma_f32 v6, -v6, v52, v50
	v_bfe_i32 v50, v55, 0, 16
	s_delay_alu instid0(VALU_DEP_2) | instskip(NEXT) | instid1(VALU_DEP_2)
	v_div_fmas_f32 v6, v6, v48, v52
	v_cvt_f32_i32_e32 v48, v50
	s_delay_alu instid0(VALU_DEP_2) | instskip(NEXT) | instid1(VALU_DEP_1)
	v_div_fixup_f32 v5, v6, 0x42fe0000, v5
	v_mul_f32_e32 v5, v5, v48
	s_delay_alu instid0(VALU_DEP_1)
	v_fma_mixlo_f16 v48, v5, v37, v43 op_sel_hi:[0,1,1]
.LBB36_177:                             ;   in Loop: Header=BB36_85 Depth=2
	s_or_b32 exec_lo, exec_lo, s37
	s_cbranch_execnz .LBB36_179
.LBB36_178:                             ;   in Loop: Header=BB36_85 Depth=2
	s_waitcnt vmcnt(0)
	v_bfe_i32 v5, v3, 0, 8
	s_delay_alu instid0(VALU_DEP_1) | instskip(NEXT) | instid1(VALU_DEP_1)
	v_bfe_i32 v5, v5, 0, 16
	v_cvt_f32_i32_e32 v5, v5
	s_delay_alu instid0(VALU_DEP_1)
	v_fma_mixlo_f16 v48, v5, v37, v43 op_sel_hi:[0,1,1]
.LBB36_179:                             ;   in Loop: Header=BB36_85 Depth=2
	s_waitcnt vmcnt(0)
	v_lshrrev_b32_e32 v5, 8, v3
	s_and_not1_b32 vcc_lo, exec_lo, s43
	s_cbranch_vccnz .LBB36_319
; %bb.180:                              ;   in Loop: Header=BB36_85 Depth=2
	s_delay_alu instid0(VALU_DEP_1) | instskip(SKIP_2) | instid1(VALU_DEP_3)
	v_and_b32_e32 v6, 0xff, v5
	v_cmp_neq_f16_e64 s37, 0, v37
	v_mov_b32_e32 v50, v41
	v_cmp_ne_u16_e32 vcc_lo, 0, v6
	s_delay_alu instid0(VALU_DEP_3) | instskip(NEXT) | instid1(SALU_CYCLE_1)
	s_and_b32 s102, vcc_lo, s37
	s_and_saveexec_b32 s37, s102
	s_cbranch_execz .LBB36_182
; %bb.181:                              ;   in Loop: Header=BB36_85 Depth=2
	ds_load_u16 v6, v11 offset:34
	s_waitcnt lgkmcnt(0)
	v_cvt_f32_f16_e32 v6, v6
	s_delay_alu instid0(VALU_DEP_1) | instskip(NEXT) | instid1(VALU_DEP_1)
	v_div_scale_f32 v43, null, 0x42fe0000, 0x42fe0000, v6
	v_rcp_f32_e32 v50, v43
	s_waitcnt_depctr 0xfff
	v_fma_f32 v52, -v43, v50, 1.0
	s_delay_alu instid0(VALU_DEP_1) | instskip(SKIP_1) | instid1(VALU_DEP_1)
	v_fmac_f32_e32 v50, v52, v50
	v_div_scale_f32 v52, vcc_lo, v6, 0x42fe0000, v6
	v_mul_f32_e32 v55, v52, v50
	s_delay_alu instid0(VALU_DEP_1) | instskip(NEXT) | instid1(VALU_DEP_1)
	v_fma_f32 v57, -v43, v55, v52
	v_fmac_f32_e32 v55, v57, v50
	v_bfe_i32 v57, v5, 0, 8
	s_delay_alu instid0(VALU_DEP_2) | instskip(NEXT) | instid1(VALU_DEP_2)
	v_fma_f32 v43, -v43, v55, v52
	v_bfe_i32 v52, v57, 0, 16
	s_delay_alu instid0(VALU_DEP_2) | instskip(NEXT) | instid1(VALU_DEP_2)
	v_div_fmas_f32 v43, v43, v50, v55
	v_cvt_f32_i32_e32 v50, v52
	s_delay_alu instid0(VALU_DEP_2) | instskip(NEXT) | instid1(VALU_DEP_1)
	v_div_fixup_f32 v6, v43, 0x42fe0000, v6
	v_mul_f32_e32 v6, v6, v50
	s_delay_alu instid0(VALU_DEP_1)
	v_fma_mixlo_f16 v50, v6, v37, v41 op_sel_hi:[0,1,1]
.LBB36_182:                             ;   in Loop: Header=BB36_85 Depth=2
	s_or_b32 exec_lo, exec_lo, s37
	s_cbranch_execnz .LBB36_184
.LBB36_183:                             ;   in Loop: Header=BB36_85 Depth=2
	s_delay_alu instid0(VALU_DEP_1) | instskip(NEXT) | instid1(VALU_DEP_1)
	v_bfe_i32 v5, v5, 0, 8
	v_bfe_i32 v5, v5, 0, 16
	s_delay_alu instid0(VALU_DEP_1) | instskip(NEXT) | instid1(VALU_DEP_1)
	v_cvt_f32_i32_e32 v5, v5
	v_fma_mixlo_f16 v50, v5, v37, v41 op_sel_hi:[0,1,1]
.LBB36_184:                             ;   in Loop: Header=BB36_85 Depth=2
	v_lshrrev_b32_e32 v5, 16, v3
	s_and_not1_b32 vcc_lo, exec_lo, s43
	s_cbranch_vccnz .LBB36_320
; %bb.185:                              ;   in Loop: Header=BB36_85 Depth=2
	s_delay_alu instid0(VALU_DEP_1) | instskip(SKIP_2) | instid1(VALU_DEP_3)
	v_and_b32_e32 v6, 0xff, v5
	v_cmp_neq_f16_e64 s37, 0, v37
	v_mov_b32_e32 v52, v39
	v_cmp_ne_u16_e32 vcc_lo, 0, v6
	s_delay_alu instid0(VALU_DEP_3) | instskip(NEXT) | instid1(SALU_CYCLE_1)
	s_and_b32 s102, vcc_lo, s37
	s_and_saveexec_b32 s37, s102
	s_cbranch_execz .LBB36_187
; %bb.186:                              ;   in Loop: Header=BB36_85 Depth=2
	ds_load_u16 v6, v11 offset:36
	s_waitcnt lgkmcnt(0)
	v_cvt_f32_f16_e32 v6, v6
	s_delay_alu instid0(VALU_DEP_1) | instskip(NEXT) | instid1(VALU_DEP_1)
	v_div_scale_f32 v41, null, 0x42fe0000, 0x42fe0000, v6
	v_rcp_f32_e32 v43, v41
	s_waitcnt_depctr 0xfff
	v_fma_f32 v52, -v41, v43, 1.0
	s_delay_alu instid0(VALU_DEP_1) | instskip(SKIP_1) | instid1(VALU_DEP_1)
	v_fmac_f32_e32 v43, v52, v43
	v_div_scale_f32 v52, vcc_lo, v6, 0x42fe0000, v6
	v_mul_f32_e32 v55, v52, v43
	s_delay_alu instid0(VALU_DEP_1) | instskip(NEXT) | instid1(VALU_DEP_1)
	v_fma_f32 v57, -v41, v55, v52
	v_fmac_f32_e32 v55, v57, v43
	v_bfe_i32 v57, v5, 0, 8
	s_delay_alu instid0(VALU_DEP_2) | instskip(NEXT) | instid1(VALU_DEP_2)
	v_fma_f32 v41, -v41, v55, v52
	v_bfe_i32 v52, v57, 0, 16
	s_delay_alu instid0(VALU_DEP_2) | instskip(NEXT) | instid1(VALU_DEP_2)
	v_div_fmas_f32 v41, v41, v43, v55
	v_cvt_f32_i32_e32 v43, v52
	s_delay_alu instid0(VALU_DEP_2) | instskip(NEXT) | instid1(VALU_DEP_1)
	v_div_fixup_f32 v6, v41, 0x42fe0000, v6
	v_mul_f32_e32 v6, v6, v43
	s_delay_alu instid0(VALU_DEP_1)
	v_fma_mixlo_f16 v52, v6, v37, v39 op_sel_hi:[0,1,1]
.LBB36_187:                             ;   in Loop: Header=BB36_85 Depth=2
	s_or_b32 exec_lo, exec_lo, s37
	s_cbranch_execnz .LBB36_189
.LBB36_188:                             ;   in Loop: Header=BB36_85 Depth=2
	s_delay_alu instid0(VALU_DEP_1) | instskip(NEXT) | instid1(VALU_DEP_1)
	v_bfe_i32 v5, v5, 0, 8
	v_bfe_i32 v5, v5, 0, 16
	s_delay_alu instid0(VALU_DEP_1) | instskip(NEXT) | instid1(VALU_DEP_1)
	v_cvt_f32_i32_e32 v5, v5
	v_fma_mixlo_f16 v52, v5, v37, v39 op_sel_hi:[0,1,1]
.LBB36_189:                             ;   in Loop: Header=BB36_85 Depth=2
	s_and_not1_b32 vcc_lo, exec_lo, s43
	s_cbranch_vccnz .LBB36_321
; %bb.190:                              ;   in Loop: Header=BB36_85 Depth=2
	v_lshrrev_b64 v[5:6], 24, v[3:4]
	v_cmp_neq_f16_e64 s37, 0, v37
	s_delay_alu instid0(VALU_DEP_2) | instskip(NEXT) | instid1(VALU_DEP_1)
	v_dual_mov_b32 v55, v35 :: v_dual_and_b32 v6, 0xff, v5
	v_cmp_ne_u16_e32 vcc_lo, 0, v6
	s_delay_alu instid0(VALU_DEP_3) | instskip(NEXT) | instid1(SALU_CYCLE_1)
	s_and_b32 s102, vcc_lo, s37
	s_and_saveexec_b32 s37, s102
	s_cbranch_execz .LBB36_192
; %bb.191:                              ;   in Loop: Header=BB36_85 Depth=2
	ds_load_u16 v6, v11 offset:38
	v_bfe_i32 v5, v5, 0, 8
	s_delay_alu instid0(VALU_DEP_1) | instskip(NEXT) | instid1(VALU_DEP_1)
	v_bfe_i32 v5, v5, 0, 16
	v_cvt_f32_i32_e32 v5, v5
	s_waitcnt lgkmcnt(0)
	v_cvt_f32_f16_e32 v6, v6
	s_delay_alu instid0(VALU_DEP_1) | instskip(NEXT) | instid1(VALU_DEP_1)
	v_div_scale_f32 v39, null, 0x42fe0000, 0x42fe0000, v6
	v_rcp_f32_e32 v41, v39
	s_waitcnt_depctr 0xfff
	v_fma_f32 v43, -v39, v41, 1.0
	s_delay_alu instid0(VALU_DEP_1) | instskip(SKIP_1) | instid1(VALU_DEP_1)
	v_fmac_f32_e32 v41, v43, v41
	v_div_scale_f32 v43, vcc_lo, v6, 0x42fe0000, v6
	v_mul_f32_e32 v55, v43, v41
	s_delay_alu instid0(VALU_DEP_1) | instskip(NEXT) | instid1(VALU_DEP_1)
	v_fma_f32 v57, -v39, v55, v43
	v_fmac_f32_e32 v55, v57, v41
	s_delay_alu instid0(VALU_DEP_1) | instskip(NEXT) | instid1(VALU_DEP_1)
	v_fma_f32 v39, -v39, v55, v43
	v_div_fmas_f32 v39, v39, v41, v55
	s_delay_alu instid0(VALU_DEP_1) | instskip(NEXT) | instid1(VALU_DEP_1)
	v_div_fixup_f32 v6, v39, 0x42fe0000, v6
	v_mul_f32_e32 v5, v6, v5
	s_delay_alu instid0(VALU_DEP_1)
	v_fma_mixlo_f16 v55, v5, v37, v35 op_sel_hi:[0,1,1]
.LBB36_192:                             ;   in Loop: Header=BB36_85 Depth=2
	s_or_b32 exec_lo, exec_lo, s37
	s_cbranch_execnz .LBB36_194
.LBB36_193:                             ;   in Loop: Header=BB36_85 Depth=2
	v_lshrrev_b32_e32 v3, 24, v3
	s_delay_alu instid0(VALU_DEP_1) | instskip(NEXT) | instid1(VALU_DEP_1)
	v_bfe_i32 v3, v3, 0, 8
	v_bfe_i32 v3, v3, 0, 16
	s_delay_alu instid0(VALU_DEP_1) | instskip(NEXT) | instid1(VALU_DEP_1)
	v_cvt_f32_i32_e32 v3, v3
	v_fma_mixlo_f16 v55, v3, v37, v35 op_sel_hi:[0,1,1]
.LBB36_194:                             ;   in Loop: Header=BB36_85 Depth=2
	s_and_not1_b32 vcc_lo, exec_lo, s43
	s_cbranch_vccnz .LBB36_322
; %bb.195:                              ;   in Loop: Header=BB36_85 Depth=2
	v_and_b32_e32 v3, 0xff, v4
	v_cmp_neq_f16_e64 s37, 0, v37
	v_mov_b32_e32 v57, v33
	s_delay_alu instid0(VALU_DEP_3) | instskip(NEXT) | instid1(VALU_DEP_3)
	v_cmp_ne_u16_e32 vcc_lo, 0, v3
	s_and_b32 s102, vcc_lo, s37
	s_delay_alu instid0(SALU_CYCLE_1)
	s_and_saveexec_b32 s37, s102
	s_cbranch_execz .LBB36_197
; %bb.196:                              ;   in Loop: Header=BB36_85 Depth=2
	ds_load_u16 v3, v11 offset:40
	s_waitcnt lgkmcnt(0)
	v_cvt_f32_f16_e32 v3, v3
	s_delay_alu instid0(VALU_DEP_1) | instskip(NEXT) | instid1(VALU_DEP_1)
	v_div_scale_f32 v5, null, 0x42fe0000, 0x42fe0000, v3
	v_rcp_f32_e32 v6, v5
	s_waitcnt_depctr 0xfff
	v_fma_f32 v35, -v5, v6, 1.0
	s_delay_alu instid0(VALU_DEP_1) | instskip(SKIP_1) | instid1(VALU_DEP_1)
	v_fmac_f32_e32 v6, v35, v6
	v_div_scale_f32 v35, vcc_lo, v3, 0x42fe0000, v3
	v_mul_f32_e32 v39, v35, v6
	s_delay_alu instid0(VALU_DEP_1) | instskip(NEXT) | instid1(VALU_DEP_1)
	v_fma_f32 v41, -v5, v39, v35
	v_fmac_f32_e32 v39, v41, v6
	v_bfe_i32 v41, v4, 0, 8
	s_delay_alu instid0(VALU_DEP_2) | instskip(NEXT) | instid1(VALU_DEP_2)
	v_fma_f32 v5, -v5, v39, v35
	v_bfe_i32 v35, v41, 0, 16
	s_delay_alu instid0(VALU_DEP_2) | instskip(NEXT) | instid1(VALU_DEP_2)
	v_div_fmas_f32 v5, v5, v6, v39
	v_cvt_f32_i32_e32 v6, v35
	s_delay_alu instid0(VALU_DEP_2) | instskip(NEXT) | instid1(VALU_DEP_1)
	v_div_fixup_f32 v3, v5, 0x42fe0000, v3
	v_mul_f32_e32 v3, v3, v6
	s_delay_alu instid0(VALU_DEP_1)
	v_fma_mixlo_f16 v57, v3, v37, v33 op_sel_hi:[0,1,1]
.LBB36_197:                             ;   in Loop: Header=BB36_85 Depth=2
	s_or_b32 exec_lo, exec_lo, s37
	s_cbranch_execnz .LBB36_199
.LBB36_198:                             ;   in Loop: Header=BB36_85 Depth=2
	v_bfe_i32 v3, v4, 0, 8
	s_delay_alu instid0(VALU_DEP_1) | instskip(NEXT) | instid1(VALU_DEP_1)
	v_bfe_i32 v3, v3, 0, 16
	v_cvt_f32_i32_e32 v3, v3
	s_delay_alu instid0(VALU_DEP_1)
	v_fma_mixlo_f16 v57, v3, v37, v33 op_sel_hi:[0,1,1]
.LBB36_199:                             ;   in Loop: Header=BB36_85 Depth=2
	v_lshrrev_b32_e32 v3, 8, v4
	s_and_not1_b32 vcc_lo, exec_lo, s43
	s_cbranch_vccnz .LBB36_323
; %bb.200:                              ;   in Loop: Header=BB36_85 Depth=2
	s_delay_alu instid0(VALU_DEP_1) | instskip(SKIP_2) | instid1(VALU_DEP_3)
	v_and_b32_e32 v5, 0xff, v3
	v_cmp_neq_f16_e64 s37, 0, v37
	v_mov_b32_e32 v59, v31
	v_cmp_ne_u16_e32 vcc_lo, 0, v5
	s_delay_alu instid0(VALU_DEP_3) | instskip(NEXT) | instid1(SALU_CYCLE_1)
	s_and_b32 s102, vcc_lo, s37
	s_and_saveexec_b32 s37, s102
	s_cbranch_execz .LBB36_202
; %bb.201:                              ;   in Loop: Header=BB36_85 Depth=2
	ds_load_u16 v5, v11 offset:42
	s_waitcnt lgkmcnt(0)
	v_cvt_f32_f16_e32 v5, v5
	s_delay_alu instid0(VALU_DEP_1) | instskip(NEXT) | instid1(VALU_DEP_1)
	v_div_scale_f32 v6, null, 0x42fe0000, 0x42fe0000, v5
	v_rcp_f32_e32 v33, v6
	s_waitcnt_depctr 0xfff
	v_fma_f32 v35, -v6, v33, 1.0
	s_delay_alu instid0(VALU_DEP_1) | instskip(SKIP_1) | instid1(VALU_DEP_1)
	v_fmac_f32_e32 v33, v35, v33
	v_div_scale_f32 v35, vcc_lo, v5, 0x42fe0000, v5
	v_mul_f32_e32 v39, v35, v33
	s_delay_alu instid0(VALU_DEP_1) | instskip(NEXT) | instid1(VALU_DEP_1)
	v_fma_f32 v41, -v6, v39, v35
	v_fmac_f32_e32 v39, v41, v33
	v_bfe_i32 v41, v3, 0, 8
	s_delay_alu instid0(VALU_DEP_2) | instskip(NEXT) | instid1(VALU_DEP_2)
	v_fma_f32 v6, -v6, v39, v35
	v_bfe_i32 v35, v41, 0, 16
	s_delay_alu instid0(VALU_DEP_2) | instskip(NEXT) | instid1(VALU_DEP_2)
	v_div_fmas_f32 v6, v6, v33, v39
	v_cvt_f32_i32_e32 v33, v35
	s_delay_alu instid0(VALU_DEP_2) | instskip(NEXT) | instid1(VALU_DEP_1)
	v_div_fixup_f32 v5, v6, 0x42fe0000, v5
	v_mul_f32_e32 v5, v5, v33
	s_delay_alu instid0(VALU_DEP_1)
	v_fma_mixlo_f16 v59, v5, v37, v31 op_sel_hi:[0,1,1]
.LBB36_202:                             ;   in Loop: Header=BB36_85 Depth=2
	s_or_b32 exec_lo, exec_lo, s37
	s_cbranch_execnz .LBB36_204
.LBB36_203:                             ;   in Loop: Header=BB36_85 Depth=2
	s_delay_alu instid0(VALU_DEP_1) | instskip(NEXT) | instid1(VALU_DEP_1)
	v_bfe_i32 v3, v3, 0, 8
	v_bfe_i32 v3, v3, 0, 16
	s_delay_alu instid0(VALU_DEP_1) | instskip(NEXT) | instid1(VALU_DEP_1)
	v_cvt_f32_i32_e32 v3, v3
	v_fma_mixlo_f16 v59, v3, v37, v31 op_sel_hi:[0,1,1]
.LBB36_204:                             ;   in Loop: Header=BB36_85 Depth=2
	v_lshrrev_b32_e32 v3, 16, v4
	s_and_not1_b32 vcc_lo, exec_lo, s43
	s_cbranch_vccnz .LBB36_324
; %bb.205:                              ;   in Loop: Header=BB36_85 Depth=2
	s_delay_alu instid0(VALU_DEP_1) | instskip(SKIP_1) | instid1(VALU_DEP_2)
	v_dual_mov_b32 v60, v29 :: v_dual_and_b32 v5, 0xff, v3
	v_cmp_neq_f16_e64 s37, 0, v37
	v_cmp_ne_u16_e32 vcc_lo, 0, v5
	s_delay_alu instid0(VALU_DEP_2) | instskip(NEXT) | instid1(SALU_CYCLE_1)
	s_and_b32 s102, vcc_lo, s37
	s_and_saveexec_b32 s37, s102
	s_cbranch_execz .LBB36_207
; %bb.206:                              ;   in Loop: Header=BB36_85 Depth=2
	ds_load_u16 v5, v11 offset:44
	s_waitcnt lgkmcnt(0)
	v_cvt_f32_f16_e32 v5, v5
	s_delay_alu instid0(VALU_DEP_1) | instskip(NEXT) | instid1(VALU_DEP_1)
	v_div_scale_f32 v6, null, 0x42fe0000, 0x42fe0000, v5
	v_rcp_f32_e32 v31, v6
	s_waitcnt_depctr 0xfff
	v_fma_f32 v33, -v6, v31, 1.0
	s_delay_alu instid0(VALU_DEP_1) | instskip(SKIP_1) | instid1(VALU_DEP_1)
	v_fmac_f32_e32 v31, v33, v31
	v_div_scale_f32 v33, vcc_lo, v5, 0x42fe0000, v5
	v_mul_f32_e32 v35, v33, v31
	s_delay_alu instid0(VALU_DEP_1) | instskip(NEXT) | instid1(VALU_DEP_1)
	v_fma_f32 v39, -v6, v35, v33
	v_fmac_f32_e32 v35, v39, v31
	v_bfe_i32 v39, v3, 0, 8
	s_delay_alu instid0(VALU_DEP_2) | instskip(NEXT) | instid1(VALU_DEP_2)
	v_fma_f32 v6, -v6, v35, v33
	v_bfe_i32 v33, v39, 0, 16
	s_delay_alu instid0(VALU_DEP_2) | instskip(NEXT) | instid1(VALU_DEP_2)
	v_div_fmas_f32 v6, v6, v31, v35
	v_cvt_f32_i32_e32 v31, v33
	s_delay_alu instid0(VALU_DEP_2) | instskip(NEXT) | instid1(VALU_DEP_1)
	v_div_fixup_f32 v5, v6, 0x42fe0000, v5
	v_mul_f32_e32 v5, v5, v31
	s_delay_alu instid0(VALU_DEP_1)
	v_fma_mixlo_f16 v60, v5, v37, v29 op_sel_hi:[0,1,1]
.LBB36_207:                             ;   in Loop: Header=BB36_85 Depth=2
	s_or_b32 exec_lo, exec_lo, s37
	s_cbranch_execnz .LBB36_209
.LBB36_208:                             ;   in Loop: Header=BB36_85 Depth=2
	s_delay_alu instid0(VALU_DEP_1) | instskip(NEXT) | instid1(VALU_DEP_1)
	v_bfe_i32 v3, v3, 0, 8
	v_bfe_i32 v3, v3, 0, 16
	s_delay_alu instid0(VALU_DEP_1) | instskip(NEXT) | instid1(VALU_DEP_1)
	v_cvt_f32_i32_e32 v3, v3
	v_fma_mixlo_f16 v60, v3, v37, v29 op_sel_hi:[0,1,1]
.LBB36_209:                             ;   in Loop: Header=BB36_85 Depth=2
	v_lshrrev_b32_e32 v3, 24, v4
	s_and_not1_b32 vcc_lo, exec_lo, s43
	s_cbranch_vccnz .LBB36_325
; %bb.210:                              ;   in Loop: Header=BB36_85 Depth=2
	s_delay_alu instid0(VALU_DEP_1) | instskip(SKIP_2) | instid1(VALU_DEP_2)
	v_cmp_ne_u16_e32 vcc_lo, 0, v3
	v_cmp_neq_f16_e64 s37, 0, v37
	v_mov_b32_e32 v61, v28
	s_and_b32 s102, vcc_lo, s37
	s_delay_alu instid0(SALU_CYCLE_1)
	s_and_saveexec_b32 s37, s102
	s_cbranch_execz .LBB36_212
; %bb.211:                              ;   in Loop: Header=BB36_85 Depth=2
	ds_load_u16 v4, v11 offset:46
	s_waitcnt lgkmcnt(0)
	v_cvt_f32_f16_e32 v4, v4
	s_delay_alu instid0(VALU_DEP_1) | instskip(NEXT) | instid1(VALU_DEP_1)
	v_div_scale_f32 v5, null, 0x42fe0000, 0x42fe0000, v4
	v_rcp_f32_e32 v6, v5
	s_waitcnt_depctr 0xfff
	v_fma_f32 v29, -v5, v6, 1.0
	s_delay_alu instid0(VALU_DEP_1) | instskip(SKIP_1) | instid1(VALU_DEP_1)
	v_fmac_f32_e32 v6, v29, v6
	v_div_scale_f32 v29, vcc_lo, v4, 0x42fe0000, v4
	v_mul_f32_e32 v31, v29, v6
	s_delay_alu instid0(VALU_DEP_1) | instskip(NEXT) | instid1(VALU_DEP_1)
	v_fma_f32 v33, -v5, v31, v29
	v_fmac_f32_e32 v31, v33, v6
	v_bfe_i32 v33, v3, 0, 8
	s_delay_alu instid0(VALU_DEP_2) | instskip(NEXT) | instid1(VALU_DEP_2)
	v_fma_f32 v5, -v5, v31, v29
	v_bfe_i32 v29, v33, 0, 16
	s_delay_alu instid0(VALU_DEP_2) | instskip(NEXT) | instid1(VALU_DEP_2)
	v_div_fmas_f32 v5, v5, v6, v31
	v_cvt_f32_i32_e32 v6, v29
	s_delay_alu instid0(VALU_DEP_2) | instskip(NEXT) | instid1(VALU_DEP_1)
	v_div_fixup_f32 v4, v5, 0x42fe0000, v4
	v_mul_f32_e32 v4, v4, v6
	s_delay_alu instid0(VALU_DEP_1)
	v_fma_mixlo_f16 v61, v4, v37, v28 op_sel_hi:[0,1,1]
.LBB36_212:                             ;   in Loop: Header=BB36_85 Depth=2
	s_or_b32 exec_lo, exec_lo, s37
	s_cbranch_execnz .LBB36_214
.LBB36_213:                             ;   in Loop: Header=BB36_85 Depth=2
	s_delay_alu instid0(VALU_DEP_1) | instskip(NEXT) | instid1(VALU_DEP_1)
	v_bfe_i32 v3, v3, 0, 8
	v_bfe_i32 v3, v3, 0, 16
	s_delay_alu instid0(VALU_DEP_1) | instskip(NEXT) | instid1(VALU_DEP_1)
	v_cvt_f32_i32_e32 v3, v3
	v_fma_mixlo_f16 v61, v3, v37, v28 op_sel_hi:[0,1,1]
.LBB36_214:                             ;   in Loop: Header=BB36_85 Depth=2
	s_and_saveexec_b32 s102, s2
	s_cbranch_execz .LBB36_81
; %bb.215:                              ;   in Loop: Header=BB36_85 Depth=2
                                        ; implicit-def: $vgpr3_vgpr4
	s_and_saveexec_b32 s37, s4
	s_delay_alu instid0(SALU_CYCLE_1)
	s_xor_b32 s37, exec_lo, s37
	s_cbranch_execnz .LBB36_326
; %bb.216:                              ;   in Loop: Header=BB36_85 Depth=2
	s_and_not1_saveexec_b32 s37, s37
	s_cbranch_execnz .LBB36_339
.LBB36_217:                             ;   in Loop: Header=BB36_85 Depth=2
	s_or_b32 exec_lo, exec_lo, s37
	s_delay_alu instid0(SALU_CYCLE_1)
	s_and_not1_b32 vcc_lo, exec_lo, s43
	s_cbranch_vccnz .LBB36_340
.LBB36_218:                             ;   in Loop: Header=BB36_85 Depth=2
	s_waitcnt vmcnt(0)
	v_dual_mov_b32 v28, v24 :: v_dual_and_b32 v5, 0xff, v3
	v_cmp_neq_f16_e64 s37, 0, v37
	s_delay_alu instid0(VALU_DEP_2) | instskip(NEXT) | instid1(VALU_DEP_2)
	v_cmp_ne_u16_e32 vcc_lo, 0, v5
	s_and_b32 s103, vcc_lo, s37
	s_delay_alu instid0(SALU_CYCLE_1)
	s_and_saveexec_b32 s37, s103
	s_cbranch_execz .LBB36_220
; %bb.219:                              ;   in Loop: Header=BB36_85 Depth=2
	ds_load_u16 v5, v11 offset:48
	s_waitcnt lgkmcnt(0)
	v_cvt_f32_f16_e32 v5, v5
	s_delay_alu instid0(VALU_DEP_1) | instskip(NEXT) | instid1(VALU_DEP_1)
	v_div_scale_f32 v6, null, 0x42fe0000, 0x42fe0000, v5
	v_rcp_f32_e32 v28, v6
	s_waitcnt_depctr 0xfff
	v_fma_f32 v29, -v6, v28, 1.0
	s_delay_alu instid0(VALU_DEP_1) | instskip(SKIP_1) | instid1(VALU_DEP_1)
	v_fmac_f32_e32 v28, v29, v28
	v_div_scale_f32 v29, vcc_lo, v5, 0x42fe0000, v5
	v_mul_f32_e32 v31, v29, v28
	s_delay_alu instid0(VALU_DEP_1) | instskip(NEXT) | instid1(VALU_DEP_1)
	v_fma_f32 v33, -v6, v31, v29
	v_fmac_f32_e32 v31, v33, v28
	v_bfe_i32 v33, v3, 0, 8
	s_delay_alu instid0(VALU_DEP_2) | instskip(NEXT) | instid1(VALU_DEP_2)
	v_fma_f32 v6, -v6, v31, v29
	v_bfe_i32 v29, v33, 0, 16
	s_delay_alu instid0(VALU_DEP_2) | instskip(NEXT) | instid1(VALU_DEP_2)
	v_div_fmas_f32 v6, v6, v28, v31
	v_cvt_f32_i32_e32 v28, v29
	s_delay_alu instid0(VALU_DEP_2) | instskip(NEXT) | instid1(VALU_DEP_1)
	v_div_fixup_f32 v5, v6, 0x42fe0000, v5
	v_mul_f32_e32 v5, v5, v28
	s_delay_alu instid0(VALU_DEP_1)
	v_fma_mixlo_f16 v28, v5, v37, v24 op_sel_hi:[0,1,1]
.LBB36_220:                             ;   in Loop: Header=BB36_85 Depth=2
	s_or_b32 exec_lo, exec_lo, s37
	s_cbranch_execnz .LBB36_222
.LBB36_221:                             ;   in Loop: Header=BB36_85 Depth=2
	s_waitcnt vmcnt(0)
	v_bfe_i32 v5, v3, 0, 8
	s_delay_alu instid0(VALU_DEP_1) | instskip(NEXT) | instid1(VALU_DEP_1)
	v_bfe_i32 v5, v5, 0, 16
	v_cvt_f32_i32_e32 v5, v5
	s_delay_alu instid0(VALU_DEP_1)
	v_fma_mixlo_f16 v28, v5, v37, v24 op_sel_hi:[0,1,1]
.LBB36_222:                             ;   in Loop: Header=BB36_85 Depth=2
	s_waitcnt vmcnt(0)
	v_lshrrev_b32_e32 v5, 8, v3
	s_and_not1_b32 vcc_lo, exec_lo, s43
	s_cbranch_vccnz .LBB36_343
; %bb.223:                              ;   in Loop: Header=BB36_85 Depth=2
	s_delay_alu instid0(VALU_DEP_1) | instskip(SKIP_1) | instid1(VALU_DEP_2)
	v_dual_mov_b32 v29, v23 :: v_dual_and_b32 v6, 0xff, v5
	v_cmp_neq_f16_e64 s37, 0, v37
	v_cmp_ne_u16_e32 vcc_lo, 0, v6
	s_delay_alu instid0(VALU_DEP_2) | instskip(NEXT) | instid1(SALU_CYCLE_1)
	s_and_b32 s103, vcc_lo, s37
	s_and_saveexec_b32 s37, s103
	s_cbranch_execz .LBB36_225
; %bb.224:                              ;   in Loop: Header=BB36_85 Depth=2
	ds_load_u16 v6, v11 offset:50
	s_waitcnt lgkmcnt(0)
	v_cvt_f32_f16_e32 v6, v6
	s_delay_alu instid0(VALU_DEP_1) | instskip(NEXT) | instid1(VALU_DEP_1)
	v_div_scale_f32 v24, null, 0x42fe0000, 0x42fe0000, v6
	v_rcp_f32_e32 v29, v24
	s_waitcnt_depctr 0xfff
	v_fma_f32 v31, -v24, v29, 1.0
	s_delay_alu instid0(VALU_DEP_1) | instskip(SKIP_1) | instid1(VALU_DEP_1)
	v_fmac_f32_e32 v29, v31, v29
	v_div_scale_f32 v31, vcc_lo, v6, 0x42fe0000, v6
	v_mul_f32_e32 v33, v31, v29
	s_delay_alu instid0(VALU_DEP_1) | instskip(NEXT) | instid1(VALU_DEP_1)
	v_fma_f32 v35, -v24, v33, v31
	v_fmac_f32_e32 v33, v35, v29
	v_bfe_i32 v35, v5, 0, 8
	s_delay_alu instid0(VALU_DEP_2) | instskip(NEXT) | instid1(VALU_DEP_2)
	v_fma_f32 v24, -v24, v33, v31
	v_bfe_i32 v31, v35, 0, 16
	s_delay_alu instid0(VALU_DEP_2) | instskip(NEXT) | instid1(VALU_DEP_2)
	v_div_fmas_f32 v24, v24, v29, v33
	v_cvt_f32_i32_e32 v29, v31
	s_delay_alu instid0(VALU_DEP_2) | instskip(NEXT) | instid1(VALU_DEP_1)
	v_div_fixup_f32 v6, v24, 0x42fe0000, v6
	v_mul_f32_e32 v6, v6, v29
	s_delay_alu instid0(VALU_DEP_1)
	v_fma_mixlo_f16 v29, v6, v37, v23 op_sel_hi:[0,1,1]
.LBB36_225:                             ;   in Loop: Header=BB36_85 Depth=2
	s_or_b32 exec_lo, exec_lo, s37
	s_cbranch_execnz .LBB36_227
.LBB36_226:                             ;   in Loop: Header=BB36_85 Depth=2
	s_delay_alu instid0(VALU_DEP_1) | instskip(NEXT) | instid1(VALU_DEP_1)
	v_bfe_i32 v5, v5, 0, 8
	v_bfe_i32 v5, v5, 0, 16
	s_delay_alu instid0(VALU_DEP_1) | instskip(NEXT) | instid1(VALU_DEP_1)
	v_cvt_f32_i32_e32 v5, v5
	v_fma_mixlo_f16 v29, v5, v37, v23 op_sel_hi:[0,1,1]
.LBB36_227:                             ;   in Loop: Header=BB36_85 Depth=2
	v_lshrrev_b32_e32 v5, 16, v3
	s_and_not1_b32 vcc_lo, exec_lo, s43
	s_cbranch_vccnz .LBB36_344
; %bb.228:                              ;   in Loop: Header=BB36_85 Depth=2
	s_delay_alu instid0(VALU_DEP_1) | instskip(SKIP_1) | instid1(VALU_DEP_2)
	v_dual_mov_b32 v31, v22 :: v_dual_and_b32 v6, 0xff, v5
	v_cmp_neq_f16_e64 s37, 0, v37
	v_cmp_ne_u16_e32 vcc_lo, 0, v6
	s_delay_alu instid0(VALU_DEP_2) | instskip(NEXT) | instid1(SALU_CYCLE_1)
	s_and_b32 s103, vcc_lo, s37
	s_and_saveexec_b32 s37, s103
	s_cbranch_execz .LBB36_230
; %bb.229:                              ;   in Loop: Header=BB36_85 Depth=2
	ds_load_u16 v6, v11 offset:52
	s_waitcnt lgkmcnt(0)
	v_cvt_f32_f16_e32 v6, v6
	s_delay_alu instid0(VALU_DEP_1) | instskip(NEXT) | instid1(VALU_DEP_1)
	v_div_scale_f32 v23, null, 0x42fe0000, 0x42fe0000, v6
	v_rcp_f32_e32 v24, v23
	s_waitcnt_depctr 0xfff
	v_fma_f32 v31, -v23, v24, 1.0
	s_delay_alu instid0(VALU_DEP_1) | instskip(SKIP_1) | instid1(VALU_DEP_1)
	v_fmac_f32_e32 v24, v31, v24
	v_div_scale_f32 v31, vcc_lo, v6, 0x42fe0000, v6
	v_mul_f32_e32 v33, v31, v24
	s_delay_alu instid0(VALU_DEP_1) | instskip(NEXT) | instid1(VALU_DEP_1)
	v_fma_f32 v35, -v23, v33, v31
	v_fmac_f32_e32 v33, v35, v24
	v_bfe_i32 v35, v5, 0, 8
	s_delay_alu instid0(VALU_DEP_2) | instskip(NEXT) | instid1(VALU_DEP_2)
	v_fma_f32 v23, -v23, v33, v31
	v_bfe_i32 v31, v35, 0, 16
	s_delay_alu instid0(VALU_DEP_2) | instskip(NEXT) | instid1(VALU_DEP_2)
	v_div_fmas_f32 v23, v23, v24, v33
	v_cvt_f32_i32_e32 v24, v31
	s_delay_alu instid0(VALU_DEP_2) | instskip(NEXT) | instid1(VALU_DEP_1)
	v_div_fixup_f32 v6, v23, 0x42fe0000, v6
	v_mul_f32_e32 v6, v6, v24
	s_delay_alu instid0(VALU_DEP_1)
	v_fma_mixlo_f16 v31, v6, v37, v22 op_sel_hi:[0,1,1]
.LBB36_230:                             ;   in Loop: Header=BB36_85 Depth=2
	s_or_b32 exec_lo, exec_lo, s37
	s_cbranch_execnz .LBB36_232
.LBB36_231:                             ;   in Loop: Header=BB36_85 Depth=2
	s_delay_alu instid0(VALU_DEP_1) | instskip(NEXT) | instid1(VALU_DEP_1)
	v_bfe_i32 v5, v5, 0, 8
	v_bfe_i32 v5, v5, 0, 16
	s_delay_alu instid0(VALU_DEP_1) | instskip(NEXT) | instid1(VALU_DEP_1)
	v_cvt_f32_i32_e32 v5, v5
	v_fma_mixlo_f16 v31, v5, v37, v22 op_sel_hi:[0,1,1]
.LBB36_232:                             ;   in Loop: Header=BB36_85 Depth=2
	s_and_not1_b32 vcc_lo, exec_lo, s43
	s_cbranch_vccnz .LBB36_345
; %bb.233:                              ;   in Loop: Header=BB36_85 Depth=2
	v_lshrrev_b64 v[5:6], 24, v[3:4]
	v_cmp_neq_f16_e64 s37, 0, v37
	s_delay_alu instid0(VALU_DEP_2) | instskip(NEXT) | instid1(VALU_DEP_1)
	v_and_b32_e32 v6, 0xff, v5
	v_cmp_ne_u16_e32 vcc_lo, 0, v6
	v_mov_b32_e32 v6, v21
	s_delay_alu instid0(VALU_DEP_4) | instskip(NEXT) | instid1(SALU_CYCLE_1)
	s_and_b32 s103, vcc_lo, s37
	s_and_saveexec_b32 s37, s103
	s_cbranch_execz .LBB36_235
; %bb.234:                              ;   in Loop: Header=BB36_85 Depth=2
	ds_load_u16 v6, v11 offset:54
	v_bfe_i32 v5, v5, 0, 8
	s_delay_alu instid0(VALU_DEP_1) | instskip(NEXT) | instid1(VALU_DEP_1)
	v_bfe_i32 v5, v5, 0, 16
	v_cvt_f32_i32_e32 v5, v5
	s_waitcnt lgkmcnt(0)
	v_cvt_f32_f16_e32 v6, v6
	s_delay_alu instid0(VALU_DEP_1) | instskip(NEXT) | instid1(VALU_DEP_1)
	v_div_scale_f32 v22, null, 0x42fe0000, 0x42fe0000, v6
	v_rcp_f32_e32 v23, v22
	s_waitcnt_depctr 0xfff
	v_fma_f32 v24, -v22, v23, 1.0
	s_delay_alu instid0(VALU_DEP_1) | instskip(SKIP_1) | instid1(VALU_DEP_1)
	v_fmac_f32_e32 v23, v24, v23
	v_div_scale_f32 v24, vcc_lo, v6, 0x42fe0000, v6
	v_mul_f32_e32 v33, v24, v23
	s_delay_alu instid0(VALU_DEP_1) | instskip(NEXT) | instid1(VALU_DEP_1)
	v_fma_f32 v35, -v22, v33, v24
	v_fmac_f32_e32 v33, v35, v23
	s_delay_alu instid0(VALU_DEP_1) | instskip(NEXT) | instid1(VALU_DEP_1)
	v_fma_f32 v22, -v22, v33, v24
	v_div_fmas_f32 v22, v22, v23, v33
	s_delay_alu instid0(VALU_DEP_1) | instskip(NEXT) | instid1(VALU_DEP_1)
	v_div_fixup_f32 v6, v22, 0x42fe0000, v6
	v_mul_f32_e32 v5, v6, v5
	s_delay_alu instid0(VALU_DEP_1)
	v_fma_mixlo_f16 v6, v5, v37, v21 op_sel_hi:[0,1,1]
.LBB36_235:                             ;   in Loop: Header=BB36_85 Depth=2
	s_or_b32 exec_lo, exec_lo, s37
	s_cbranch_execnz .LBB36_237
.LBB36_236:                             ;   in Loop: Header=BB36_85 Depth=2
	v_lshrrev_b32_e32 v3, 24, v3
	s_delay_alu instid0(VALU_DEP_1) | instskip(NEXT) | instid1(VALU_DEP_1)
	v_bfe_i32 v3, v3, 0, 8
	v_bfe_i32 v3, v3, 0, 16
	s_delay_alu instid0(VALU_DEP_1) | instskip(NEXT) | instid1(VALU_DEP_1)
	v_cvt_f32_i32_e32 v3, v3
	v_fma_mixlo_f16 v6, v3, v37, v21 op_sel_hi:[0,1,1]
.LBB36_237:                             ;   in Loop: Header=BB36_85 Depth=2
	s_and_not1_b32 vcc_lo, exec_lo, s43
	s_cbranch_vccnz .LBB36_346
; %bb.238:                              ;   in Loop: Header=BB36_85 Depth=2
	v_and_b32_e32 v3, 0xff, v4
	v_cmp_neq_f16_e64 s37, 0, v37
	s_delay_alu instid0(VALU_DEP_2) | instskip(SKIP_1) | instid1(VALU_DEP_3)
	v_cmp_ne_u16_e32 vcc_lo, 0, v3
	v_mov_b32_e32 v3, v19
	s_and_b32 s103, vcc_lo, s37
	s_delay_alu instid0(SALU_CYCLE_1)
	s_and_saveexec_b32 s37, s103
	s_cbranch_execz .LBB36_240
; %bb.239:                              ;   in Loop: Header=BB36_85 Depth=2
	ds_load_u16 v3, v11 offset:56
	s_waitcnt lgkmcnt(0)
	v_cvt_f32_f16_e32 v3, v3
	s_delay_alu instid0(VALU_DEP_1) | instskip(NEXT) | instid1(VALU_DEP_1)
	v_div_scale_f32 v5, null, 0x42fe0000, 0x42fe0000, v3
	v_rcp_f32_e32 v21, v5
	s_waitcnt_depctr 0xfff
	v_fma_f32 v22, -v5, v21, 1.0
	s_delay_alu instid0(VALU_DEP_1) | instskip(SKIP_1) | instid1(VALU_DEP_1)
	v_fmac_f32_e32 v21, v22, v21
	v_div_scale_f32 v22, vcc_lo, v3, 0x42fe0000, v3
	v_mul_f32_e32 v23, v22, v21
	s_delay_alu instid0(VALU_DEP_1) | instskip(NEXT) | instid1(VALU_DEP_1)
	v_fma_f32 v24, -v5, v23, v22
	v_fmac_f32_e32 v23, v24, v21
	v_bfe_i32 v24, v4, 0, 8
	s_delay_alu instid0(VALU_DEP_2) | instskip(NEXT) | instid1(VALU_DEP_2)
	v_fma_f32 v5, -v5, v23, v22
	v_bfe_i32 v22, v24, 0, 16
	s_delay_alu instid0(VALU_DEP_2) | instskip(NEXT) | instid1(VALU_DEP_2)
	v_div_fmas_f32 v5, v5, v21, v23
	v_cvt_f32_i32_e32 v21, v22
	s_delay_alu instid0(VALU_DEP_2) | instskip(NEXT) | instid1(VALU_DEP_1)
	v_div_fixup_f32 v3, v5, 0x42fe0000, v3
	v_mul_f32_e32 v3, v3, v21
	s_delay_alu instid0(VALU_DEP_1)
	v_fma_mixlo_f16 v3, v3, v37, v19 op_sel_hi:[0,1,1]
.LBB36_240:                             ;   in Loop: Header=BB36_85 Depth=2
	s_or_b32 exec_lo, exec_lo, s37
	s_cbranch_execnz .LBB36_242
.LBB36_241:                             ;   in Loop: Header=BB36_85 Depth=2
	v_bfe_i32 v3, v4, 0, 8
	s_delay_alu instid0(VALU_DEP_1) | instskip(NEXT) | instid1(VALU_DEP_1)
	v_bfe_i32 v3, v3, 0, 16
	v_cvt_f32_i32_e32 v3, v3
	s_delay_alu instid0(VALU_DEP_1)
	v_fma_mixlo_f16 v3, v3, v37, v19 op_sel_hi:[0,1,1]
.LBB36_242:                             ;   in Loop: Header=BB36_85 Depth=2
	v_lshrrev_b32_e32 v19, 8, v4
	s_and_not1_b32 vcc_lo, exec_lo, s43
	s_cbranch_vccnz .LBB36_347
; %bb.243:                              ;   in Loop: Header=BB36_85 Depth=2
	s_delay_alu instid0(VALU_DEP_1) | instskip(SKIP_1) | instid1(VALU_DEP_2)
	v_and_b32_e32 v5, 0xff, v19
	v_cmp_neq_f16_e64 s37, 0, v37
	v_cmp_ne_u16_e32 vcc_lo, 0, v5
	v_mov_b32_e32 v5, v18
	s_delay_alu instid0(VALU_DEP_3) | instskip(NEXT) | instid1(SALU_CYCLE_1)
	s_and_b32 s103, vcc_lo, s37
	s_and_saveexec_b32 s37, s103
	s_cbranch_execz .LBB36_245
; %bb.244:                              ;   in Loop: Header=BB36_85 Depth=2
	ds_load_u16 v5, v11 offset:58
	s_waitcnt lgkmcnt(0)
	v_cvt_f32_f16_e32 v5, v5
	s_delay_alu instid0(VALU_DEP_1) | instskip(NEXT) | instid1(VALU_DEP_1)
	v_div_scale_f32 v21, null, 0x42fe0000, 0x42fe0000, v5
	v_rcp_f32_e32 v22, v21
	s_waitcnt_depctr 0xfff
	v_fma_f32 v23, -v21, v22, 1.0
	s_delay_alu instid0(VALU_DEP_1) | instskip(SKIP_1) | instid1(VALU_DEP_1)
	v_fmac_f32_e32 v22, v23, v22
	v_div_scale_f32 v23, vcc_lo, v5, 0x42fe0000, v5
	v_mul_f32_e32 v24, v23, v22
	s_delay_alu instid0(VALU_DEP_1) | instskip(NEXT) | instid1(VALU_DEP_1)
	v_fma_f32 v33, -v21, v24, v23
	v_fmac_f32_e32 v24, v33, v22
	v_bfe_i32 v33, v19, 0, 8
	s_delay_alu instid0(VALU_DEP_2) | instskip(NEXT) | instid1(VALU_DEP_2)
	v_fma_f32 v21, -v21, v24, v23
	v_bfe_i32 v23, v33, 0, 16
	s_delay_alu instid0(VALU_DEP_2) | instskip(NEXT) | instid1(VALU_DEP_2)
	v_div_fmas_f32 v21, v21, v22, v24
	v_cvt_f32_i32_e32 v22, v23
	s_delay_alu instid0(VALU_DEP_2) | instskip(NEXT) | instid1(VALU_DEP_1)
	v_div_fixup_f32 v5, v21, 0x42fe0000, v5
	v_mul_f32_e32 v5, v5, v22
	s_delay_alu instid0(VALU_DEP_1)
	v_fma_mixlo_f16 v5, v5, v37, v18 op_sel_hi:[0,1,1]
.LBB36_245:                             ;   in Loop: Header=BB36_85 Depth=2
	s_or_b32 exec_lo, exec_lo, s37
	s_cbranch_execnz .LBB36_247
.LBB36_246:                             ;   in Loop: Header=BB36_85 Depth=2
	s_delay_alu instid0(VALU_DEP_1) | instskip(NEXT) | instid1(VALU_DEP_1)
	v_bfe_i32 v5, v19, 0, 8
	v_bfe_i32 v5, v5, 0, 16
	s_delay_alu instid0(VALU_DEP_1) | instskip(NEXT) | instid1(VALU_DEP_1)
	v_cvt_f32_i32_e32 v5, v5
	v_fma_mixlo_f16 v5, v5, v37, v18 op_sel_hi:[0,1,1]
.LBB36_247:                             ;   in Loop: Header=BB36_85 Depth=2
	v_lshrrev_b32_e32 v18, 16, v4
	s_and_not1_b32 vcc_lo, exec_lo, s43
	s_cbranch_vccnz .LBB36_348
; %bb.248:                              ;   in Loop: Header=BB36_85 Depth=2
	s_delay_alu instid0(VALU_DEP_1) | instskip(SKIP_2) | instid1(VALU_DEP_3)
	v_and_b32_e32 v19, 0xff, v18
	v_cmp_neq_f16_e64 s37, 0, v37
	v_mov_b32_e32 v33, v17
	v_cmp_ne_u16_e32 vcc_lo, 0, v19
	s_delay_alu instid0(VALU_DEP_3) | instskip(NEXT) | instid1(SALU_CYCLE_1)
	s_and_b32 s103, vcc_lo, s37
	s_and_saveexec_b32 s37, s103
	s_cbranch_execz .LBB36_250
; %bb.249:                              ;   in Loop: Header=BB36_85 Depth=2
	ds_load_u16 v19, v11 offset:60
	s_waitcnt lgkmcnt(0)
	v_cvt_f32_f16_e32 v19, v19
	s_delay_alu instid0(VALU_DEP_1) | instskip(NEXT) | instid1(VALU_DEP_1)
	v_div_scale_f32 v21, null, 0x42fe0000, 0x42fe0000, v19
	v_rcp_f32_e32 v22, v21
	s_waitcnt_depctr 0xfff
	v_fma_f32 v23, -v21, v22, 1.0
	s_delay_alu instid0(VALU_DEP_1) | instskip(SKIP_1) | instid1(VALU_DEP_1)
	v_fmac_f32_e32 v22, v23, v22
	v_div_scale_f32 v23, vcc_lo, v19, 0x42fe0000, v19
	v_mul_f32_e32 v24, v23, v22
	s_delay_alu instid0(VALU_DEP_1) | instskip(NEXT) | instid1(VALU_DEP_1)
	v_fma_f32 v33, -v21, v24, v23
	v_fmac_f32_e32 v24, v33, v22
	v_bfe_i32 v33, v18, 0, 8
	s_delay_alu instid0(VALU_DEP_2) | instskip(NEXT) | instid1(VALU_DEP_2)
	v_fma_f32 v21, -v21, v24, v23
	v_bfe_i32 v23, v33, 0, 16
	s_delay_alu instid0(VALU_DEP_2) | instskip(NEXT) | instid1(VALU_DEP_2)
	v_div_fmas_f32 v21, v21, v22, v24
	v_cvt_f32_i32_e32 v22, v23
	s_delay_alu instid0(VALU_DEP_2) | instskip(NEXT) | instid1(VALU_DEP_1)
	v_div_fixup_f32 v19, v21, 0x42fe0000, v19
	v_mul_f32_e32 v19, v19, v22
	s_delay_alu instid0(VALU_DEP_1)
	v_fma_mixlo_f16 v33, v19, v37, v17 op_sel_hi:[0,1,1]
.LBB36_250:                             ;   in Loop: Header=BB36_85 Depth=2
	s_or_b32 exec_lo, exec_lo, s37
	s_cbranch_execnz .LBB36_252
.LBB36_251:                             ;   in Loop: Header=BB36_85 Depth=2
	s_delay_alu instid0(VALU_DEP_1) | instskip(NEXT) | instid1(VALU_DEP_1)
	v_bfe_i32 v18, v18, 0, 8
	v_bfe_i32 v18, v18, 0, 16
	s_delay_alu instid0(VALU_DEP_1) | instskip(NEXT) | instid1(VALU_DEP_1)
	v_cvt_f32_i32_e32 v18, v18
	v_fma_mixlo_f16 v33, v18, v37, v17 op_sel_hi:[0,1,1]
.LBB36_252:                             ;   in Loop: Header=BB36_85 Depth=2
	v_lshrrev_b32_e32 v17, 24, v4
	s_and_not1_b32 vcc_lo, exec_lo, s43
	s_cbranch_vccnz .LBB36_349
; %bb.253:                              ;   in Loop: Header=BB36_85 Depth=2
	s_delay_alu instid0(VALU_DEP_1) | instskip(SKIP_2) | instid1(VALU_DEP_2)
	v_cmp_ne_u16_e32 vcc_lo, 0, v17
	v_cmp_neq_f16_e64 s37, 0, v37
	v_mov_b32_e32 v4, v15
	s_and_b32 s103, vcc_lo, s37
	s_delay_alu instid0(SALU_CYCLE_1)
	s_and_saveexec_b32 s37, s103
	s_cbranch_execz .LBB36_255
; %bb.254:                              ;   in Loop: Header=BB36_85 Depth=2
	ds_load_u16 v4, v11 offset:62
	s_waitcnt lgkmcnt(0)
	v_cvt_f32_f16_e32 v4, v4
	s_delay_alu instid0(VALU_DEP_1) | instskip(NEXT) | instid1(VALU_DEP_1)
	v_div_scale_f32 v18, null, 0x42fe0000, 0x42fe0000, v4
	v_rcp_f32_e32 v19, v18
	s_waitcnt_depctr 0xfff
	v_fma_f32 v21, -v18, v19, 1.0
	s_delay_alu instid0(VALU_DEP_1) | instskip(SKIP_1) | instid1(VALU_DEP_1)
	v_fmac_f32_e32 v19, v21, v19
	v_div_scale_f32 v21, vcc_lo, v4, 0x42fe0000, v4
	v_mul_f32_e32 v22, v21, v19
	s_delay_alu instid0(VALU_DEP_1) | instskip(NEXT) | instid1(VALU_DEP_1)
	v_fma_f32 v23, -v18, v22, v21
	v_fmac_f32_e32 v22, v23, v19
	v_bfe_i32 v23, v17, 0, 8
	s_delay_alu instid0(VALU_DEP_2) | instskip(NEXT) | instid1(VALU_DEP_2)
	v_fma_f32 v18, -v18, v22, v21
	v_bfe_i32 v21, v23, 0, 16
	s_delay_alu instid0(VALU_DEP_2) | instskip(NEXT) | instid1(VALU_DEP_2)
	v_div_fmas_f32 v18, v18, v19, v22
	v_cvt_f32_i32_e32 v19, v21
	s_delay_alu instid0(VALU_DEP_2) | instskip(NEXT) | instid1(VALU_DEP_1)
	v_div_fixup_f32 v4, v18, 0x42fe0000, v4
	v_mul_f32_e32 v4, v4, v19
	s_delay_alu instid0(VALU_DEP_1)
	v_fma_mixlo_f16 v4, v4, v37, v15 op_sel_hi:[0,1,1]
.LBB36_255:                             ;   in Loop: Header=BB36_85 Depth=2
	s_or_b32 exec_lo, exec_lo, s37
	s_cbranch_execnz .LBB36_80
	s_branch .LBB36_350
.LBB36_256:                             ;   in Loop: Header=BB36_85 Depth=2
	s_delay_alu instid0(VALU_DEP_1) | instskip(SKIP_3) | instid1(VALU_DEP_4)
	v_ashrrev_i32_e32 v4, 31, v30
	v_add_co_u32 v3, vcc_lo, s48, v30
	v_mov_b32_e32 v30, 0
	v_mov_b32_e32 v34, 0
	v_add_co_ci_u32_e32 v4, vcc_lo, s49, v4, vcc_lo
	global_load_u8 v32, v[3:4], off
	s_and_saveexec_b32 s100, s8
	s_cbranch_execz .LBB36_258
; %bb.257:                              ;   in Loop: Header=BB36_85 Depth=2
	global_load_u8 v34, v[3:4], off offset:1
.LBB36_258:                             ;   in Loop: Header=BB36_85 Depth=2
	s_or_b32 exec_lo, exec_lo, s100
	s_and_saveexec_b32 s100, s9
	s_cbranch_execz .LBB36_260
; %bb.259:                              ;   in Loop: Header=BB36_85 Depth=2
	global_load_u8 v30, v[3:4], off offset:2
.LBB36_260:                             ;   in Loop: Header=BB36_85 Depth=2
	s_or_b32 exec_lo, exec_lo, s100
	v_dual_mov_b32 v37, 0 :: v_dual_mov_b32 v36, 0
	s_and_saveexec_b32 s100, s10
	s_cbranch_execz .LBB36_262
; %bb.261:                              ;   in Loop: Header=BB36_85 Depth=2
	global_load_u8 v36, v[3:4], off offset:3
.LBB36_262:                             ;   in Loop: Header=BB36_85 Depth=2
	s_or_b32 exec_lo, exec_lo, s100
	s_and_saveexec_b32 s100, s11
	s_cbranch_execz .LBB36_264
; %bb.263:                              ;   in Loop: Header=BB36_85 Depth=2
	global_load_u8 v37, v[3:4], off offset:4
.LBB36_264:                             ;   in Loop: Header=BB36_85 Depth=2
	s_or_b32 exec_lo, exec_lo, s100
	v_mov_b32_e32 v38, 0
	v_mov_b32_e32 v40, 0
	s_and_saveexec_b32 s100, s12
	s_cbranch_execnz .LBB36_293
; %bb.265:                              ;   in Loop: Header=BB36_85 Depth=2
	s_or_b32 exec_lo, exec_lo, s100
	s_and_saveexec_b32 s100, s13
	s_cbranch_execnz .LBB36_294
.LBB36_266:                             ;   in Loop: Header=BB36_85 Depth=2
	s_or_b32 exec_lo, exec_lo, s100
	v_mov_b32_e32 v42, 0
	s_and_saveexec_b32 s100, s14
	s_cbranch_execz .LBB36_268
.LBB36_267:                             ;   in Loop: Header=BB36_85 Depth=2
	global_load_u8 v42, v[3:4], off offset:7
.LBB36_268:                             ;   in Loop: Header=BB36_85 Depth=2
	s_or_b32 exec_lo, exec_lo, s100
	s_waitcnt vmcnt(0)
	v_lshlrev_b16 v3, 8, v40
	v_and_b32_e32 v4, 0xff, v37
	v_lshlrev_b16 v37, 8, v42
	v_and_b32_e32 v38, 0xff, v38
	;; [unrolled: 2-line block ×4, first 2 shown]
	v_or_b32_e32 v3, v4, v3
	v_or_b32_e32 v4, v38, v37
	;; [unrolled: 1-line block ×3, first 2 shown]
	s_delay_alu instid0(VALU_DEP_4) | instskip(NEXT) | instid1(VALU_DEP_4)
	v_or_b32_e32 v30, v30, v36
	v_and_b32_e32 v3, 0xffff, v3
	s_delay_alu instid0(VALU_DEP_4) | instskip(NEXT) | instid1(VALU_DEP_4)
	v_lshlrev_b32_e32 v4, 16, v4
	v_and_b32_e32 v32, 0xffff, v32
	s_delay_alu instid0(VALU_DEP_4) | instskip(NEXT) | instid1(VALU_DEP_3)
	v_lshlrev_b32_e32 v30, 16, v30
	v_or_b32_e32 v4, v3, v4
	s_delay_alu instid0(VALU_DEP_2)
	v_or_b32_e32 v3, v32, v30
                                        ; implicit-def: $vgpr30
	s_and_not1_saveexec_b32 s37, s37
	s_cbranch_execz .LBB36_88
.LBB36_269:                             ;   in Loop: Header=BB36_85 Depth=2
	v_ashrrev_i32_e32 v3, 31, v30
	s_delay_alu instid0(VALU_DEP_1) | instskip(NEXT) | instid1(VALU_DEP_1)
	v_lshrrev_b32_e32 v3, 29, v3
	v_add_nc_u32_e32 v3, v30, v3
	s_delay_alu instid0(VALU_DEP_1) | instskip(NEXT) | instid1(VALU_DEP_1)
	v_ashrrev_i32_e32 v3, 3, v3
	v_ashrrev_i32_e32 v4, 31, v3
	s_delay_alu instid0(VALU_DEP_1) | instskip(NEXT) | instid1(VALU_DEP_1)
	v_lshlrev_b64 v[3:4], 3, v[3:4]
	v_add_co_u32 v3, vcc_lo, s48, v3
	s_delay_alu instid0(VALU_DEP_2) | instskip(SKIP_2) | instid1(SALU_CYCLE_1)
	v_add_co_ci_u32_e32 v4, vcc_lo, s49, v4, vcc_lo
	global_load_b64 v[3:4], v[3:4], off
	s_or_b32 exec_lo, exec_lo, s37
	s_and_not1_b32 vcc_lo, exec_lo, s43
	s_cbranch_vccz .LBB36_89
.LBB36_270:                             ;   in Loop: Header=BB36_85 Depth=2
                                        ; implicit-def: $vgpr30
                                        ; implicit-def: $vgpr37
	s_branch .LBB36_92
.LBB36_271:                             ;   in Loop: Header=BB36_85 Depth=2
                                        ; implicit-def: $vgpr32
	s_branch .LBB36_97
.LBB36_272:                             ;   in Loop: Header=BB36_85 Depth=2
                                        ; implicit-def: $vgpr34
	s_branch .LBB36_102
.LBB36_273:                             ;   in Loop: Header=BB36_85 Depth=2
                                        ; implicit-def: $vgpr36
	s_branch .LBB36_107
.LBB36_274:                             ;   in Loop: Header=BB36_85 Depth=2
                                        ; implicit-def: $vgpr38
	s_branch .LBB36_112
.LBB36_275:                             ;   in Loop: Header=BB36_85 Depth=2
                                        ; implicit-def: $vgpr40
	s_branch .LBB36_117
.LBB36_276:                             ;   in Loop: Header=BB36_85 Depth=2
                                        ; implicit-def: $vgpr42
	s_branch .LBB36_122
.LBB36_277:                             ;   in Loop: Header=BB36_85 Depth=2
                                        ; implicit-def: $vgpr44
	s_branch .LBB36_127
.LBB36_278:                             ;   in Loop: Header=BB36_85 Depth=2
	v_ashrrev_i32_e32 v3, 31, v46
	v_add_co_u32 v6, vcc_lo, v12, v46
	v_mov_b32_e32 v5, 0
	s_delay_alu instid0(VALU_DEP_3) | instskip(NEXT) | instid1(VALU_DEP_3)
	v_add_co_ci_u32_e32 v45, vcc_lo, v25, v3, vcc_lo
	v_add_co_u32 v3, vcc_lo, s64, v6
	s_delay_alu instid0(VALU_DEP_2)
	v_add_co_ci_u32_e32 v4, vcc_lo, s65, v45, vcc_lo
	global_load_u8 v3, v[3:4], off
	v_mov_b32_e32 v4, 0
	s_and_saveexec_b32 s101, s15
	s_cbranch_execz .LBB36_280
; %bb.279:                              ;   in Loop: Header=BB36_85 Depth=2
	v_add_co_u32 v53, vcc_lo, s66, v6
	v_add_co_ci_u32_e32 v54, vcc_lo, s67, v45, vcc_lo
	global_load_u8 v5, v[53:54], off
.LBB36_280:                             ;   in Loop: Header=BB36_85 Depth=2
	s_or_b32 exec_lo, exec_lo, s101
	s_and_saveexec_b32 s101, s16
	s_cbranch_execz .LBB36_282
; %bb.281:                              ;   in Loop: Header=BB36_85 Depth=2
	v_add_co_u32 v53, vcc_lo, s68, v6
	v_add_co_ci_u32_e32 v54, vcc_lo, s69, v45, vcc_lo
	global_load_u8 v4, v[53:54], off
.LBB36_282:                             ;   in Loop: Header=BB36_85 Depth=2
	s_or_b32 exec_lo, exec_lo, s101
	v_mov_b32_e32 v49, 0
	v_mov_b32_e32 v47, 0
	s_and_saveexec_b32 s101, s17
	s_cbranch_execz .LBB36_284
; %bb.283:                              ;   in Loop: Header=BB36_85 Depth=2
	v_add_co_u32 v53, vcc_lo, s70, v6
	v_add_co_ci_u32_e32 v54, vcc_lo, s71, v45, vcc_lo
	global_load_u8 v47, v[53:54], off
.LBB36_284:                             ;   in Loop: Header=BB36_85 Depth=2
	s_or_b32 exec_lo, exec_lo, s101
	s_and_saveexec_b32 s101, s18
	s_cbranch_execz .LBB36_286
; %bb.285:                              ;   in Loop: Header=BB36_85 Depth=2
	v_add_co_u32 v53, vcc_lo, s72, v6
	v_add_co_ci_u32_e32 v54, vcc_lo, s73, v45, vcc_lo
	global_load_u8 v49, v[53:54], off
.LBB36_286:                             ;   in Loop: Header=BB36_85 Depth=2
	s_or_b32 exec_lo, exec_lo, s101
	v_mov_b32_e32 v51, 0
	v_mov_b32_e32 v53, 0
	s_and_saveexec_b32 s101, s19
	s_cbranch_execnz .LBB36_317
; %bb.287:                              ;   in Loop: Header=BB36_85 Depth=2
	s_or_b32 exec_lo, exec_lo, s101
	s_and_saveexec_b32 s101, s20
	s_cbranch_execnz .LBB36_318
.LBB36_288:                             ;   in Loop: Header=BB36_85 Depth=2
	s_or_b32 exec_lo, exec_lo, s101
	v_mov_b32_e32 v54, 0
	s_and_saveexec_b32 s101, s21
	s_cbranch_execz .LBB36_290
.LBB36_289:                             ;   in Loop: Header=BB36_85 Depth=2
	v_add_co_u32 v62, vcc_lo, s78, v6
	v_add_co_ci_u32_e32 v63, vcc_lo, s79, v45, vcc_lo
	global_load_u8 v54, v[62:63], off
.LBB36_290:                             ;   in Loop: Header=BB36_85 Depth=2
	s_or_b32 exec_lo, exec_lo, s101
	s_waitcnt vmcnt(0)
	v_lshlrev_b16 v6, 8, v53
	v_and_b32_e32 v45, 0xff, v49
	v_lshlrev_b16 v49, 8, v54
	v_and_b32_e32 v51, 0xff, v51
	;; [unrolled: 2-line block ×4, first 2 shown]
	v_or_b32_e32 v6, v45, v6
	v_or_b32_e32 v45, v51, v49
	;; [unrolled: 1-line block ×3, first 2 shown]
	s_delay_alu instid0(VALU_DEP_4) | instskip(NEXT) | instid1(VALU_DEP_4)
	v_or_b32_e32 v4, v4, v47
	v_and_b32_e32 v5, 0xffff, v6
	s_delay_alu instid0(VALU_DEP_4) | instskip(NEXT) | instid1(VALU_DEP_4)
	v_lshlrev_b32_e32 v6, 16, v45
	v_and_b32_e32 v3, 0xffff, v3
	s_delay_alu instid0(VALU_DEP_4) | instskip(NEXT) | instid1(VALU_DEP_3)
	v_lshlrev_b32_e32 v45, 16, v4
	v_or_b32_e32 v4, v5, v6
	s_delay_alu instid0(VALU_DEP_2)
	v_or_b32_e32 v3, v3, v45
	s_and_not1_saveexec_b32 s37, s37
	s_cbranch_execz .LBB36_131
.LBB36_291:                             ;   in Loop: Header=BB36_85 Depth=2
	v_add_nc_u32_e32 v3, v20, v46
	s_delay_alu instid0(VALU_DEP_1) | instskip(NEXT) | instid1(VALU_DEP_1)
	v_ashrrev_i32_e32 v4, 31, v3
	v_lshrrev_b32_e32 v4, 29, v4
	s_delay_alu instid0(VALU_DEP_1) | instskip(NEXT) | instid1(VALU_DEP_1)
	v_add_nc_u32_e32 v3, v3, v4
	v_ashrrev_i32_e32 v3, 3, v3
	s_delay_alu instid0(VALU_DEP_1) | instskip(NEXT) | instid1(VALU_DEP_1)
	v_ashrrev_i32_e32 v4, 31, v3
	v_lshlrev_b64 v[3:4], 3, v[3:4]
	s_delay_alu instid0(VALU_DEP_1) | instskip(NEXT) | instid1(VALU_DEP_2)
	v_add_co_u32 v3, vcc_lo, s48, v3
	v_add_co_ci_u32_e32 v4, vcc_lo, s49, v4, vcc_lo
	global_load_b64 v[3:4], v[3:4], off
	s_or_b32 exec_lo, exec_lo, s37
	s_delay_alu instid0(SALU_CYCLE_1)
	s_and_not1_b32 vcc_lo, exec_lo, s43
	s_cbranch_vccz .LBB36_132
.LBB36_292:                             ;   in Loop: Header=BB36_85 Depth=2
                                        ; implicit-def: $vgpr45
	s_branch .LBB36_135
.LBB36_293:                             ;   in Loop: Header=BB36_85 Depth=2
	global_load_u8 v40, v[3:4], off offset:5
	s_or_b32 exec_lo, exec_lo, s100
	s_and_saveexec_b32 s100, s13
	s_cbranch_execz .LBB36_266
.LBB36_294:                             ;   in Loop: Header=BB36_85 Depth=2
	global_load_u8 v38, v[3:4], off offset:6
	s_or_b32 exec_lo, exec_lo, s100
	v_mov_b32_e32 v42, 0
	s_and_saveexec_b32 s100, s14
	s_cbranch_execnz .LBB36_267
	s_branch .LBB36_268
.LBB36_295:                             ;   in Loop: Header=BB36_85 Depth=2
                                        ; implicit-def: $vgpr47
	s_branch .LBB36_140
.LBB36_296:                             ;   in Loop: Header=BB36_85 Depth=2
                                        ; implicit-def: $vgpr49
	s_branch .LBB36_145
.LBB36_297:                             ;   in Loop: Header=BB36_85 Depth=2
                                        ; implicit-def: $vgpr51
	s_branch .LBB36_150
.LBB36_298:                             ;   in Loop: Header=BB36_85 Depth=2
                                        ; implicit-def: $vgpr53
	s_branch .LBB36_155
.LBB36_299:                             ;   in Loop: Header=BB36_85 Depth=2
                                        ; implicit-def: $vgpr54
	s_branch .LBB36_160
.LBB36_300:                             ;   in Loop: Header=BB36_85 Depth=2
                                        ; implicit-def: $vgpr56
	s_branch .LBB36_165
.LBB36_301:                             ;   in Loop: Header=BB36_85 Depth=2
                                        ; implicit-def: $vgpr58
	s_branch .LBB36_170
.LBB36_302:                             ;   in Loop: Header=BB36_85 Depth=2
	v_ashrrev_i32_e32 v3, 31, v46
	v_add_co_u32 v6, vcc_lo, v12, v46
	v_mov_b32_e32 v5, 0
	s_delay_alu instid0(VALU_DEP_3) | instskip(NEXT) | instid1(VALU_DEP_3)
	v_add_co_ci_u32_e32 v48, vcc_lo, v25, v3, vcc_lo
	v_add_co_u32 v3, vcc_lo, s80, v6
	s_delay_alu instid0(VALU_DEP_2)
	v_add_co_ci_u32_e32 v4, vcc_lo, s81, v48, vcc_lo
	global_load_u8 v3, v[3:4], off
	v_mov_b32_e32 v4, 0
	s_and_saveexec_b32 s102, s22
	s_cbranch_execz .LBB36_304
; %bb.303:                              ;   in Loop: Header=BB36_85 Depth=2
	v_add_co_u32 v59, vcc_lo, s82, v6
	v_add_co_ci_u32_e32 v60, vcc_lo, s83, v48, vcc_lo
	global_load_u8 v5, v[59:60], off
.LBB36_304:                             ;   in Loop: Header=BB36_85 Depth=2
	s_or_b32 exec_lo, exec_lo, s102
	s_and_saveexec_b32 s102, s23
	s_cbranch_execz .LBB36_306
; %bb.305:                              ;   in Loop: Header=BB36_85 Depth=2
	v_add_co_u32 v59, vcc_lo, s84, v6
	v_add_co_ci_u32_e32 v60, vcc_lo, s85, v48, vcc_lo
	global_load_u8 v4, v[59:60], off
.LBB36_306:                             ;   in Loop: Header=BB36_85 Depth=2
	s_or_b32 exec_lo, exec_lo, s102
	v_mov_b32_e32 v52, 0
	v_mov_b32_e32 v50, 0
	s_and_saveexec_b32 s102, s24
	s_cbranch_execz .LBB36_308
; %bb.307:                              ;   in Loop: Header=BB36_85 Depth=2
	v_add_co_u32 v59, vcc_lo, s86, v6
	v_add_co_ci_u32_e32 v60, vcc_lo, s87, v48, vcc_lo
	global_load_u8 v50, v[59:60], off
.LBB36_308:                             ;   in Loop: Header=BB36_85 Depth=2
	s_or_b32 exec_lo, exec_lo, s102
	s_and_saveexec_b32 s102, s25
	s_cbranch_execz .LBB36_310
; %bb.309:                              ;   in Loop: Header=BB36_85 Depth=2
	v_add_co_u32 v59, vcc_lo, s88, v6
	v_add_co_ci_u32_e32 v60, vcc_lo, s89, v48, vcc_lo
	global_load_u8 v52, v[59:60], off
.LBB36_310:                             ;   in Loop: Header=BB36_85 Depth=2
	s_or_b32 exec_lo, exec_lo, s102
	v_mov_b32_e32 v55, 0
	v_mov_b32_e32 v57, 0
	s_and_saveexec_b32 s102, s26
	s_cbranch_execnz .LBB36_341
; %bb.311:                              ;   in Loop: Header=BB36_85 Depth=2
	s_or_b32 exec_lo, exec_lo, s102
	s_and_saveexec_b32 s102, s27
	s_cbranch_execnz .LBB36_342
.LBB36_312:                             ;   in Loop: Header=BB36_85 Depth=2
	s_or_b32 exec_lo, exec_lo, s102
	v_mov_b32_e32 v59, 0
	s_and_saveexec_b32 s102, s28
	s_cbranch_execz .LBB36_314
.LBB36_313:                             ;   in Loop: Header=BB36_85 Depth=2
	v_add_co_u32 v59, vcc_lo, s94, v6
	v_add_co_ci_u32_e32 v60, vcc_lo, s95, v48, vcc_lo
	global_load_u8 v59, v[59:60], off
.LBB36_314:                             ;   in Loop: Header=BB36_85 Depth=2
	s_or_b32 exec_lo, exec_lo, s102
	s_waitcnt vmcnt(0)
	v_lshlrev_b16 v6, 8, v57
	v_and_b32_e32 v48, 0xff, v52
	v_lshlrev_b16 v52, 8, v59
	v_and_b32_e32 v55, 0xff, v55
	;; [unrolled: 2-line block ×4, first 2 shown]
	v_or_b32_e32 v6, v48, v6
	v_or_b32_e32 v48, v55, v52
	;; [unrolled: 1-line block ×3, first 2 shown]
	s_delay_alu instid0(VALU_DEP_4) | instskip(NEXT) | instid1(VALU_DEP_4)
	v_or_b32_e32 v4, v4, v50
	v_and_b32_e32 v5, 0xffff, v6
	s_delay_alu instid0(VALU_DEP_4) | instskip(NEXT) | instid1(VALU_DEP_4)
	v_lshlrev_b32_e32 v6, 16, v48
	v_and_b32_e32 v3, 0xffff, v3
	s_delay_alu instid0(VALU_DEP_4) | instskip(NEXT) | instid1(VALU_DEP_3)
	v_lshlrev_b32_e32 v48, 16, v4
	v_or_b32_e32 v4, v5, v6
	s_delay_alu instid0(VALU_DEP_2)
	v_or_b32_e32 v3, v3, v48
	s_and_not1_saveexec_b32 s37, s37
	s_cbranch_execz .LBB36_174
.LBB36_315:                             ;   in Loop: Header=BB36_85 Depth=2
	v_add_nc_u32_e32 v3, v16, v46
	s_delay_alu instid0(VALU_DEP_1) | instskip(NEXT) | instid1(VALU_DEP_1)
	v_ashrrev_i32_e32 v4, 31, v3
	v_lshrrev_b32_e32 v4, 29, v4
	s_delay_alu instid0(VALU_DEP_1) | instskip(NEXT) | instid1(VALU_DEP_1)
	v_add_nc_u32_e32 v3, v3, v4
	v_ashrrev_i32_e32 v3, 3, v3
	s_delay_alu instid0(VALU_DEP_1) | instskip(NEXT) | instid1(VALU_DEP_1)
	v_ashrrev_i32_e32 v4, 31, v3
	v_lshlrev_b64 v[3:4], 3, v[3:4]
	s_delay_alu instid0(VALU_DEP_1) | instskip(NEXT) | instid1(VALU_DEP_2)
	v_add_co_u32 v3, vcc_lo, s48, v3
	v_add_co_ci_u32_e32 v4, vcc_lo, s49, v4, vcc_lo
	global_load_b64 v[3:4], v[3:4], off
	s_or_b32 exec_lo, exec_lo, s37
	s_delay_alu instid0(SALU_CYCLE_1)
	s_and_not1_b32 vcc_lo, exec_lo, s43
	s_cbranch_vccz .LBB36_175
.LBB36_316:                             ;   in Loop: Header=BB36_85 Depth=2
                                        ; implicit-def: $vgpr48
	s_branch .LBB36_178
.LBB36_317:                             ;   in Loop: Header=BB36_85 Depth=2
	v_add_co_u32 v53, vcc_lo, s74, v6
	v_add_co_ci_u32_e32 v54, vcc_lo, s75, v45, vcc_lo
	global_load_u8 v53, v[53:54], off
	s_or_b32 exec_lo, exec_lo, s101
	s_and_saveexec_b32 s101, s20
	s_cbranch_execz .LBB36_288
.LBB36_318:                             ;   in Loop: Header=BB36_85 Depth=2
	v_add_co_u32 v62, vcc_lo, s76, v6
	v_add_co_ci_u32_e32 v63, vcc_lo, s77, v45, vcc_lo
	global_load_u8 v51, v[62:63], off
	s_or_b32 exec_lo, exec_lo, s101
	v_mov_b32_e32 v54, 0
	s_and_saveexec_b32 s101, s21
	s_cbranch_execnz .LBB36_289
	s_branch .LBB36_290
.LBB36_319:                             ;   in Loop: Header=BB36_85 Depth=2
                                        ; implicit-def: $vgpr50
	s_branch .LBB36_183
.LBB36_320:                             ;   in Loop: Header=BB36_85 Depth=2
                                        ; implicit-def: $vgpr52
	s_branch .LBB36_188
.LBB36_321:                             ;   in Loop: Header=BB36_85 Depth=2
                                        ; implicit-def: $vgpr55
	s_branch .LBB36_193
.LBB36_322:                             ;   in Loop: Header=BB36_85 Depth=2
                                        ; implicit-def: $vgpr57
	s_branch .LBB36_198
.LBB36_323:                             ;   in Loop: Header=BB36_85 Depth=2
                                        ; implicit-def: $vgpr59
	s_branch .LBB36_203
.LBB36_324:                             ;   in Loop: Header=BB36_85 Depth=2
                                        ; implicit-def: $vgpr60
	s_branch .LBB36_208
.LBB36_325:                             ;   in Loop: Header=BB36_85 Depth=2
                                        ; implicit-def: $vgpr61
	s_branch .LBB36_213
.LBB36_326:                             ;   in Loop: Header=BB36_85 Depth=2
	v_ashrrev_i32_e32 v3, 31, v46
	v_add_co_u32 v28, vcc_lo, v12, v46
	v_mov_b32_e32 v5, 0
	s_delay_alu instid0(VALU_DEP_3) | instskip(NEXT) | instid1(VALU_DEP_3)
	v_add_co_ci_u32_e32 v6, vcc_lo, v25, v3, vcc_lo
	v_add_co_u32 v3, vcc_lo, s96, v28
	s_delay_alu instid0(VALU_DEP_2)
	v_add_co_ci_u32_e32 v4, vcc_lo, s97, v6, vcc_lo
	global_load_u8 v3, v[3:4], off
	v_mov_b32_e32 v4, 0
	s_and_saveexec_b32 s103, s29
	s_cbranch_execz .LBB36_328
; %bb.327:                              ;   in Loop: Header=BB36_85 Depth=2
	v_readlane_b32 vcc_lo, v67, 14
	v_readlane_b32 s104, v67, 15
	s_delay_alu instid0(VALU_DEP_2) | instskip(NEXT) | instid1(VALU_DEP_2)
	v_add_co_u32 v62, vcc_lo, vcc_lo, v28
	v_add_co_ci_u32_e32 v63, vcc_lo, s104, v6, vcc_lo
	global_load_u8 v5, v[62:63], off
.LBB36_328:                             ;   in Loop: Header=BB36_85 Depth=2
	s_or_b32 exec_lo, exec_lo, s103
	s_and_saveexec_b32 s103, s30
	s_cbranch_execz .LBB36_330
; %bb.329:                              ;   in Loop: Header=BB36_85 Depth=2
	v_readlane_b32 s104, v67, 16
	s_delay_alu instid0(VALU_DEP_1) | instskip(SKIP_1) | instid1(VALU_DEP_1)
	v_add_co_u32 v62, vcc_lo, s104, v28
	v_readlane_b32 s104, v67, 17
	v_add_co_ci_u32_e32 v63, vcc_lo, s104, v6, vcc_lo
	global_load_u8 v4, v[62:63], off
.LBB36_330:                             ;   in Loop: Header=BB36_85 Depth=2
	s_or_b32 exec_lo, exec_lo, s103
	v_mov_b32_e32 v31, 0
	v_mov_b32_e32 v29, 0
	s_and_saveexec_b32 s103, s31
	s_cbranch_execz .LBB36_332
; %bb.331:                              ;   in Loop: Header=BB36_85 Depth=2
	v_readlane_b32 s104, v67, 18
	s_delay_alu instid0(VALU_DEP_1) | instskip(SKIP_1) | instid1(VALU_DEP_1)
	v_add_co_u32 v62, vcc_lo, s104, v28
	v_readlane_b32 s104, v67, 19
	v_add_co_ci_u32_e32 v63, vcc_lo, s104, v6, vcc_lo
	global_load_u8 v29, v[62:63], off
.LBB36_332:                             ;   in Loop: Header=BB36_85 Depth=2
	s_or_b32 exec_lo, exec_lo, s103
	s_and_saveexec_b32 s103, s33
	s_cbranch_execz .LBB36_334
; %bb.333:                              ;   in Loop: Header=BB36_85 Depth=2
	v_readlane_b32 s104, v67, 20
	s_delay_alu instid0(VALU_DEP_1) | instskip(SKIP_1) | instid1(VALU_DEP_1)
	v_add_co_u32 v62, vcc_lo, s104, v28
	v_readlane_b32 s104, v67, 21
	v_add_co_ci_u32_e32 v63, vcc_lo, s104, v6, vcc_lo
	global_load_u8 v31, v[62:63], off
.LBB36_334:                             ;   in Loop: Header=BB36_85 Depth=2
	s_or_b32 exec_lo, exec_lo, s103
	v_mov_b32_e32 v33, 0
	v_mov_b32_e32 v35, 0
	s_and_saveexec_b32 s103, s34
	s_cbranch_execnz .LBB36_351
; %bb.335:                              ;   in Loop: Header=BB36_85 Depth=2
	s_or_b32 exec_lo, exec_lo, s103
	s_and_saveexec_b32 s103, s35
	s_cbranch_execnz .LBB36_352
.LBB36_336:                             ;   in Loop: Header=BB36_85 Depth=2
	s_or_b32 exec_lo, exec_lo, s103
	v_mov_b32_e32 v39, 0
	s_and_saveexec_b32 s103, s36
	s_cbranch_execz .LBB36_338
.LBB36_337:                             ;   in Loop: Header=BB36_85 Depth=2
	v_readlane_b32 s104, v67, 26
	s_delay_alu instid0(VALU_DEP_1) | instskip(SKIP_1) | instid1(VALU_DEP_1)
	v_add_co_u32 v62, vcc_lo, s104, v28
	v_readlane_b32 s104, v67, 27
	v_add_co_ci_u32_e32 v63, vcc_lo, s104, v6, vcc_lo
	global_load_u8 v39, v[62:63], off
.LBB36_338:                             ;   in Loop: Header=BB36_85 Depth=2
	s_or_b32 exec_lo, exec_lo, s103
	s_waitcnt vmcnt(0)
	v_lshlrev_b16 v6, 8, v35
	v_and_b32_e32 v28, 0xff, v31
	v_lshlrev_b16 v31, 8, v39
	v_and_b32_e32 v33, 0xff, v33
	v_lshlrev_b16 v5, 8, v5
	v_and_b32_e32 v3, 0xff, v3
	v_lshlrev_b16 v29, 8, v29
	v_and_b32_e32 v4, 0xff, v4
	v_or_b32_e32 v6, v28, v6
	v_or_b32_e32 v28, v33, v31
	;; [unrolled: 1-line block ×3, first 2 shown]
                                        ; implicit-def: $vgpr46
	s_delay_alu instid0(VALU_DEP_4) | instskip(NEXT) | instid1(VALU_DEP_4)
	v_or_b32_e32 v4, v4, v29
	v_and_b32_e32 v5, 0xffff, v6
	s_delay_alu instid0(VALU_DEP_4) | instskip(NEXT) | instid1(VALU_DEP_4)
	v_lshlrev_b32_e32 v6, 16, v28
	v_and_b32_e32 v3, 0xffff, v3
	s_delay_alu instid0(VALU_DEP_4) | instskip(NEXT) | instid1(VALU_DEP_3)
	v_lshlrev_b32_e32 v28, 16, v4
	v_or_b32_e32 v4, v5, v6
	s_delay_alu instid0(VALU_DEP_2)
	v_or_b32_e32 v3, v3, v28
	s_and_not1_saveexec_b32 s37, s37
	s_cbranch_execz .LBB36_217
.LBB36_339:                             ;   in Loop: Header=BB36_85 Depth=2
	v_add_nc_u32_e32 v3, v13, v46
	s_delay_alu instid0(VALU_DEP_1) | instskip(NEXT) | instid1(VALU_DEP_1)
	v_ashrrev_i32_e32 v4, 31, v3
	v_lshrrev_b32_e32 v4, 29, v4
	s_delay_alu instid0(VALU_DEP_1) | instskip(NEXT) | instid1(VALU_DEP_1)
	v_add_nc_u32_e32 v3, v3, v4
	v_ashrrev_i32_e32 v3, 3, v3
	s_delay_alu instid0(VALU_DEP_1) | instskip(NEXT) | instid1(VALU_DEP_1)
	v_ashrrev_i32_e32 v4, 31, v3
	v_lshlrev_b64 v[3:4], 3, v[3:4]
	s_delay_alu instid0(VALU_DEP_1) | instskip(NEXT) | instid1(VALU_DEP_2)
	v_add_co_u32 v3, vcc_lo, s48, v3
	v_add_co_ci_u32_e32 v4, vcc_lo, s49, v4, vcc_lo
	global_load_b64 v[3:4], v[3:4], off
	s_or_b32 exec_lo, exec_lo, s37
	s_delay_alu instid0(SALU_CYCLE_1)
	s_and_not1_b32 vcc_lo, exec_lo, s43
	s_cbranch_vccz .LBB36_218
.LBB36_340:                             ;   in Loop: Header=BB36_85 Depth=2
                                        ; implicit-def: $vgpr28
	s_branch .LBB36_221
.LBB36_341:                             ;   in Loop: Header=BB36_85 Depth=2
	v_add_co_u32 v59, vcc_lo, s90, v6
	v_add_co_ci_u32_e32 v60, vcc_lo, s91, v48, vcc_lo
	global_load_u8 v57, v[59:60], off
	s_or_b32 exec_lo, exec_lo, s102
	s_and_saveexec_b32 s102, s27
	s_cbranch_execz .LBB36_312
.LBB36_342:                             ;   in Loop: Header=BB36_85 Depth=2
	v_add_co_u32 v59, vcc_lo, s92, v6
	v_add_co_ci_u32_e32 v60, vcc_lo, s93, v48, vcc_lo
	global_load_u8 v55, v[59:60], off
	s_or_b32 exec_lo, exec_lo, s102
	v_mov_b32_e32 v59, 0
	s_and_saveexec_b32 s102, s28
	s_cbranch_execnz .LBB36_313
	s_branch .LBB36_314
.LBB36_343:                             ;   in Loop: Header=BB36_85 Depth=2
                                        ; implicit-def: $vgpr29
	s_branch .LBB36_226
.LBB36_344:                             ;   in Loop: Header=BB36_85 Depth=2
                                        ; implicit-def: $vgpr31
	s_branch .LBB36_231
.LBB36_345:                             ;   in Loop: Header=BB36_85 Depth=2
                                        ; implicit-def: $vgpr6
	s_branch .LBB36_236
.LBB36_346:                             ;   in Loop: Header=BB36_85 Depth=2
                                        ; implicit-def: $vgpr3
	s_branch .LBB36_241
.LBB36_347:                             ;   in Loop: Header=BB36_85 Depth=2
                                        ; implicit-def: $vgpr5
	s_branch .LBB36_246
.LBB36_348:                             ;   in Loop: Header=BB36_85 Depth=2
                                        ; implicit-def: $vgpr33
	s_branch .LBB36_251
.LBB36_349:                             ;   in Loop: Header=BB36_85 Depth=2
                                        ; implicit-def: $vgpr4
.LBB36_350:                             ;   in Loop: Header=BB36_85 Depth=2
	s_delay_alu instid0(VALU_DEP_1) | instskip(NEXT) | instid1(VALU_DEP_1)
	v_bfe_i32 v4, v17, 0, 8
	v_bfe_i32 v4, v4, 0, 16
	s_delay_alu instid0(VALU_DEP_1) | instskip(NEXT) | instid1(VALU_DEP_1)
	v_cvt_f32_i32_e32 v4, v4
	v_fma_mixlo_f16 v4, v4, v37, v15 op_sel_hi:[0,1,1]
	s_branch .LBB36_80
.LBB36_351:                             ;   in Loop: Header=BB36_85 Depth=2
	v_readlane_b32 s104, v67, 22
	s_delay_alu instid0(VALU_DEP_1) | instskip(SKIP_1) | instid1(VALU_DEP_1)
	v_add_co_u32 v62, vcc_lo, s104, v28
	v_readlane_b32 s104, v67, 23
	v_add_co_ci_u32_e32 v63, vcc_lo, s104, v6, vcc_lo
	global_load_u8 v35, v[62:63], off
	s_or_b32 exec_lo, exec_lo, s103
	s_and_saveexec_b32 s103, s35
	s_cbranch_execz .LBB36_336
.LBB36_352:                             ;   in Loop: Header=BB36_85 Depth=2
	v_readlane_b32 s104, v67, 24
	s_delay_alu instid0(VALU_DEP_1) | instskip(SKIP_1) | instid1(VALU_DEP_1)
	v_add_co_u32 v62, vcc_lo, s104, v28
	v_readlane_b32 s104, v67, 25
	v_add_co_ci_u32_e32 v63, vcc_lo, s104, v6, vcc_lo
	global_load_u8 v33, v[62:63], off
	s_or_b32 exec_lo, exec_lo, s103
	v_mov_b32_e32 v39, 0
	s_and_saveexec_b32 s103, s36
	s_cbranch_execnz .LBB36_337
	s_branch .LBB36_338
.LBB36_353:                             ;   in Loop: Header=BB36_69 Depth=1
	v_add_nc_u32_e32 v3, s42, v12
	v_cmp_gt_i32_e32 vcc_lo, s41, v20
	s_mov_b32 s1, exec_lo
	v_cmpx_le_i32_e64 s41, v20
	s_xor_b32 s1, exec_lo, s1
	s_cbranch_execz .LBB36_371
; %bb.354:                              ;   in Loop: Header=BB36_69 Depth=1
	s_mov_b32 s2, exec_lo
	v_cmpx_gt_i32_e64 s41, v12
	s_cbranch_execz .LBB36_356
; %bb.355:                              ;   in Loop: Header=BB36_69 Depth=1
	v_ashrrev_i32_e32 v4, 31, v3
	s_delay_alu instid0(VALU_DEP_1) | instskip(NEXT) | instid1(VALU_DEP_1)
	v_lshlrev_b64 v[25:26], 1, v[3:4]
	v_add_co_u32 v25, s0, s50, v25
	s_delay_alu instid0(VALU_DEP_1)
	v_add_co_ci_u32_e64 v26, s0, s51, v26, s0
	global_load_u16 v4, v[25:26], off
	s_waitcnt vmcnt(0)
	v_add_f16_e32 v4, v4, v54
	global_store_b16 v[25:26], v4, off
.LBB36_356:                             ;   in Loop: Header=BB36_69 Depth=1
	s_or_b32 exec_lo, exec_lo, s2
	v_or_b32_e32 v4, 1, v12
	s_mov_b32 s2, exec_lo
	s_delay_alu instid0(VALU_DEP_1)
	v_cmpx_gt_i32_e64 s41, v4
	s_cbranch_execz .LBB36_358
; %bb.357:                              ;   in Loop: Header=BB36_69 Depth=1
	v_ashrrev_i32_e32 v4, 31, v3
	v_readlane_b32 s0, v67, 0
	v_readlane_b32 s3, v67, 1
	s_delay_alu instid0(VALU_DEP_3) | instskip(NEXT) | instid1(VALU_DEP_1)
	v_lshlrev_b64 v[25:26], 1, v[3:4]
	v_add_co_u32 v25, s0, s0, v25
	s_delay_alu instid0(VALU_DEP_1)
	v_add_co_ci_u32_e64 v26, s0, s3, v26, s0
	global_load_u16 v4, v[25:26], off
	s_waitcnt vmcnt(0)
	v_add_f16_e32 v4, v4, v6
	global_store_b16 v[25:26], v4, off
.LBB36_358:                             ;   in Loop: Header=BB36_69 Depth=1
	s_or_b32 exec_lo, exec_lo, s2
	v_or_b32_e32 v4, 2, v12
	s_mov_b32 s2, exec_lo
	s_delay_alu instid0(VALU_DEP_1)
	v_cmpx_gt_i32_e64 s41, v4
	s_cbranch_execz .LBB36_360
; %bb.359:                              ;   in Loop: Header=BB36_69 Depth=1
	v_ashrrev_i32_e32 v4, 31, v3
	v_readlane_b32 s0, v67, 2
	v_readlane_b32 s3, v67, 3
	s_delay_alu instid0(VALU_DEP_3) | instskip(NEXT) | instid1(VALU_DEP_1)
	v_lshlrev_b64 v[25:26], 1, v[3:4]
	v_add_co_u32 v25, s0, s0, v25
	s_delay_alu instid0(VALU_DEP_1)
	v_add_co_ci_u32_e64 v26, s0, s3, v26, s0
	global_load_u16 v4, v[25:26], off
	s_waitcnt vmcnt(0)
	v_add_f16_e32 v4, v4, v5
	global_store_b16 v[25:26], v4, off
.LBB36_360:                             ;   in Loop: Header=BB36_69 Depth=1
	;; [unrolled: 20-line block ×7, first 2 shown]
	s_or_b32 exec_lo, exec_lo, s2
                                        ; implicit-def: $vgpr3
                                        ; implicit-def: $vgpr54
                                        ; implicit-def: $vgpr6
                                        ; implicit-def: $vgpr5
                                        ; implicit-def: $vgpr53
                                        ; implicit-def: $vgpr51
                                        ; implicit-def: $vgpr49
                                        ; implicit-def: $vgpr47
                                        ; implicit-def: $vgpr45
.LBB36_371:                             ;   in Loop: Header=BB36_69 Depth=1
	s_and_not1_saveexec_b32 s1, s1
	s_cbranch_execz .LBB36_373
; %bb.372:                              ;   in Loop: Header=BB36_69 Depth=1
	v_ashrrev_i32_e32 v4, 31, v3
	s_delay_alu instid0(VALU_DEP_1) | instskip(NEXT) | instid1(VALU_DEP_1)
	v_lshrrev_b32_e32 v4, 29, v4
	v_add_nc_u32_e32 v3, v3, v4
	s_delay_alu instid0(VALU_DEP_1) | instskip(NEXT) | instid1(VALU_DEP_1)
	v_ashrrev_i32_e32 v3, 3, v3
	v_ashrrev_i32_e32 v4, 31, v3
	s_delay_alu instid0(VALU_DEP_1) | instskip(NEXT) | instid1(VALU_DEP_1)
	v_lshlrev_b64 v[3:4], 4, v[3:4]
	v_add_co_u32 v25, s0, s50, v3
	s_delay_alu instid0(VALU_DEP_1)
	v_add_co_ci_u32_e64 v26, s0, s51, v4, s0
	global_load_b128 v[62:65], v[25:26], off
	s_waitcnt vmcnt(0)
	v_lshrrev_b32_e32 v30, 16, v65
	v_lshrrev_b32_e32 v32, 16, v64
	;; [unrolled: 1-line block ×4, first 2 shown]
	v_add_f16_e32 v3, v54, v62
	v_add_f16_e32 v4, v5, v63
	;; [unrolled: 1-line block ×8, first 2 shown]
	s_delay_alu instid0(VALU_DEP_4) | instskip(NEXT) | instid1(VALU_DEP_4)
	v_pack_b32_f16 v6, v27, v30
	v_pack_b32_f16 v5, v5, v32
	s_delay_alu instid0(VALU_DEP_4) | instskip(NEXT) | instid1(VALU_DEP_4)
	v_pack_b32_f16 v4, v4, v34
	v_pack_b32_f16 v3, v3, v36
	global_store_b128 v[25:26], v[3:6], off
.LBB36_373:                             ;   in Loop: Header=BB36_69 Depth=1
	s_or_b32 exec_lo, exec_lo, s1
	v_cmp_gt_i32_e64 s0, s41, v16
	v_cmp_le_i32_e64 s1, s41, v16
	s_delay_alu instid0(VALU_DEP_1) | instskip(NEXT) | instid1(SALU_CYCLE_1)
	s_and_saveexec_b32 s2, s1
	s_xor_b32 s1, exec_lo, s2
	s_cbranch_execz .LBB36_391
; %bb.374:                              ;   in Loop: Header=BB36_69 Depth=1
	s_and_saveexec_b32 s2, vcc_lo
	s_cbranch_execz .LBB36_376
; %bb.375:                              ;   in Loop: Header=BB36_69 Depth=1
	v_ashrrev_i32_e32 v4, 31, v12
	v_add_co_u32 v3, vcc_lo, v12, s42
	v_readlane_b32 s3, v67, 28
	s_delay_alu instid0(VALU_DEP_3) | instskip(NEXT) | instid1(VALU_DEP_1)
	v_add_co_ci_u32_e32 v4, vcc_lo, s56, v4, vcc_lo
	v_lshlrev_b64 v[3:4], 1, v[3:4]
	s_delay_alu instid0(VALU_DEP_1) | instskip(SKIP_1) | instid1(VALU_DEP_1)
	v_add_co_u32 v3, vcc_lo, s3, v3
	v_readlane_b32 s3, v67, 29
	v_add_co_ci_u32_e32 v4, vcc_lo, s3, v4, vcc_lo
	global_load_u16 v5, v[3:4], off
	s_waitcnt vmcnt(0)
	v_add_f16_e32 v5, v5, v61
	global_store_b16 v[3:4], v5, off
.LBB36_376:                             ;   in Loop: Header=BB36_69 Depth=1
	s_or_b32 exec_lo, exec_lo, s2
	v_or_b32_e32 v3, 9, v12
	s_mov_b32 s2, exec_lo
	s_delay_alu instid0(VALU_DEP_1)
	v_cmpx_gt_i32_e64 s41, v3
	s_cbranch_execz .LBB36_378
; %bb.377:                              ;   in Loop: Header=BB36_69 Depth=1
	v_ashrrev_i32_e32 v4, 31, v12
	v_add_co_u32 v3, vcc_lo, v12, s42
	v_readlane_b32 s3, v67, 30
	s_delay_alu instid0(VALU_DEP_3) | instskip(NEXT) | instid1(VALU_DEP_1)
	v_add_co_ci_u32_e32 v4, vcc_lo, s56, v4, vcc_lo
	v_lshlrev_b64 v[3:4], 1, v[3:4]
	s_delay_alu instid0(VALU_DEP_1) | instskip(SKIP_1) | instid1(VALU_DEP_1)
	v_add_co_u32 v3, vcc_lo, s3, v3
	v_readlane_b32 s3, v67, 31
	v_add_co_ci_u32_e32 v4, vcc_lo, s3, v4, vcc_lo
	global_load_u16 v5, v[3:4], off
	s_waitcnt vmcnt(0)
	v_add_f16_e32 v5, v5, v60
	global_store_b16 v[3:4], v5, off
.LBB36_378:                             ;   in Loop: Header=BB36_69 Depth=1
	s_or_b32 exec_lo, exec_lo, s2
	v_or_b32_e32 v3, 10, v12
	s_mov_b32 s2, exec_lo
	s_delay_alu instid0(VALU_DEP_1)
	v_cmpx_gt_i32_e64 s41, v3
	s_cbranch_execz .LBB36_380
; %bb.379:                              ;   in Loop: Header=BB36_69 Depth=1
	v_ashrrev_i32_e32 v4, 31, v12
	v_add_co_u32 v3, vcc_lo, v12, s42
	v_readlane_b32 s3, v66, 0
	s_delay_alu instid0(VALU_DEP_3) | instskip(NEXT) | instid1(VALU_DEP_1)
	v_add_co_ci_u32_e32 v4, vcc_lo, s56, v4, vcc_lo
	v_lshlrev_b64 v[3:4], 1, v[3:4]
	s_delay_alu instid0(VALU_DEP_1) | instskip(SKIP_1) | instid1(VALU_DEP_1)
	v_add_co_u32 v3, vcc_lo, s3, v3
	v_readlane_b32 s3, v66, 1
	v_add_co_ci_u32_e32 v4, vcc_lo, s3, v4, vcc_lo
	global_load_u16 v5, v[3:4], off
	s_waitcnt vmcnt(0)
	v_add_f16_e32 v5, v5, v59
	global_store_b16 v[3:4], v5, off
.LBB36_380:                             ;   in Loop: Header=BB36_69 Depth=1
	s_or_b32 exec_lo, exec_lo, s2
	v_or_b32_e32 v3, 11, v12
	s_mov_b32 s2, exec_lo
	s_delay_alu instid0(VALU_DEP_1)
	v_cmpx_gt_i32_e64 s41, v3
	s_cbranch_execz .LBB36_382
; %bb.381:                              ;   in Loop: Header=BB36_69 Depth=1
	v_ashrrev_i32_e32 v4, 31, v12
	v_add_co_u32 v3, vcc_lo, v12, s42
	v_readlane_b32 s3, v66, 2
	s_delay_alu instid0(VALU_DEP_3) | instskip(NEXT) | instid1(VALU_DEP_1)
	v_add_co_ci_u32_e32 v4, vcc_lo, s56, v4, vcc_lo
	v_lshlrev_b64 v[3:4], 1, v[3:4]
	s_delay_alu instid0(VALU_DEP_1) | instskip(SKIP_1) | instid1(VALU_DEP_1)
	v_add_co_u32 v3, vcc_lo, s3, v3
	v_readlane_b32 s3, v66, 3
	v_add_co_ci_u32_e32 v4, vcc_lo, s3, v4, vcc_lo
	global_load_u16 v5, v[3:4], off
	s_waitcnt vmcnt(0)
	v_add_f16_e32 v5, v5, v57
	global_store_b16 v[3:4], v5, off
.LBB36_382:                             ;   in Loop: Header=BB36_69 Depth=1
	s_or_b32 exec_lo, exec_lo, s2
	v_or_b32_e32 v3, 12, v12
	s_mov_b32 s2, exec_lo
	s_delay_alu instid0(VALU_DEP_1)
	v_cmpx_gt_i32_e64 s41, v3
	s_cbranch_execz .LBB36_384
; %bb.383:                              ;   in Loop: Header=BB36_69 Depth=1
	v_ashrrev_i32_e32 v4, 31, v12
	v_add_co_u32 v3, vcc_lo, v12, s42
	v_readlane_b32 s3, v66, 4
	s_delay_alu instid0(VALU_DEP_3) | instskip(NEXT) | instid1(VALU_DEP_1)
	v_add_co_ci_u32_e32 v4, vcc_lo, s56, v4, vcc_lo
	v_lshlrev_b64 v[3:4], 1, v[3:4]
	s_delay_alu instid0(VALU_DEP_1) | instskip(SKIP_1) | instid1(VALU_DEP_1)
	v_add_co_u32 v3, vcc_lo, s3, v3
	v_readlane_b32 s3, v66, 5
	v_add_co_ci_u32_e32 v4, vcc_lo, s3, v4, vcc_lo
	global_load_u16 v5, v[3:4], off
	s_waitcnt vmcnt(0)
	v_add_f16_e32 v5, v5, v55
	global_store_b16 v[3:4], v5, off
.LBB36_384:                             ;   in Loop: Header=BB36_69 Depth=1
	s_or_b32 exec_lo, exec_lo, s2
	v_or_b32_e32 v3, 13, v12
	s_mov_b32 s2, exec_lo
	s_delay_alu instid0(VALU_DEP_1)
	v_cmpx_gt_i32_e64 s41, v3
	s_cbranch_execz .LBB36_386
; %bb.385:                              ;   in Loop: Header=BB36_69 Depth=1
	v_ashrrev_i32_e32 v4, 31, v12
	v_add_co_u32 v3, vcc_lo, v12, s42
	v_readlane_b32 s3, v66, 6
	s_delay_alu instid0(VALU_DEP_3) | instskip(NEXT) | instid1(VALU_DEP_1)
	v_add_co_ci_u32_e32 v4, vcc_lo, s56, v4, vcc_lo
	v_lshlrev_b64 v[3:4], 1, v[3:4]
	s_delay_alu instid0(VALU_DEP_1) | instskip(SKIP_1) | instid1(VALU_DEP_1)
	v_add_co_u32 v3, vcc_lo, s3, v3
	v_readlane_b32 s3, v66, 7
	v_add_co_ci_u32_e32 v4, vcc_lo, s3, v4, vcc_lo
	global_load_u16 v5, v[3:4], off
	s_waitcnt vmcnt(0)
	v_add_f16_e32 v5, v5, v52
	global_store_b16 v[3:4], v5, off
.LBB36_386:                             ;   in Loop: Header=BB36_69 Depth=1
	s_or_b32 exec_lo, exec_lo, s2
	v_or_b32_e32 v3, 14, v12
	s_mov_b32 s2, exec_lo
	s_delay_alu instid0(VALU_DEP_1)
	v_cmpx_gt_i32_e64 s41, v3
	s_cbranch_execz .LBB36_388
; %bb.387:                              ;   in Loop: Header=BB36_69 Depth=1
	v_ashrrev_i32_e32 v4, 31, v12
	v_add_co_u32 v3, vcc_lo, v12, s42
	v_readlane_b32 s3, v66, 8
	s_delay_alu instid0(VALU_DEP_3) | instskip(NEXT) | instid1(VALU_DEP_1)
	v_add_co_ci_u32_e32 v4, vcc_lo, s56, v4, vcc_lo
	v_lshlrev_b64 v[3:4], 1, v[3:4]
	s_delay_alu instid0(VALU_DEP_1) | instskip(SKIP_1) | instid1(VALU_DEP_1)
	v_add_co_u32 v3, vcc_lo, s3, v3
	v_readlane_b32 s3, v66, 9
	v_add_co_ci_u32_e32 v4, vcc_lo, s3, v4, vcc_lo
	global_load_u16 v5, v[3:4], off
	s_waitcnt vmcnt(0)
	v_add_f16_e32 v5, v5, v50
	global_store_b16 v[3:4], v5, off
.LBB36_388:                             ;   in Loop: Header=BB36_69 Depth=1
	s_or_b32 exec_lo, exec_lo, s2
	v_or_b32_e32 v3, 15, v12
	s_mov_b32 s2, exec_lo
	s_delay_alu instid0(VALU_DEP_1)
	v_cmpx_gt_i32_e64 s41, v3
	s_cbranch_execz .LBB36_390
; %bb.389:                              ;   in Loop: Header=BB36_69 Depth=1
	v_ashrrev_i32_e32 v4, 31, v12
	v_add_co_u32 v3, vcc_lo, v12, s42
	v_readlane_b32 s3, v66, 10
	s_delay_alu instid0(VALU_DEP_3) | instskip(NEXT) | instid1(VALU_DEP_1)
	v_add_co_ci_u32_e32 v4, vcc_lo, s56, v4, vcc_lo
	v_lshlrev_b64 v[3:4], 1, v[3:4]
	s_delay_alu instid0(VALU_DEP_1) | instskip(SKIP_1) | instid1(VALU_DEP_1)
	v_add_co_u32 v3, vcc_lo, s3, v3
	v_readlane_b32 s3, v66, 11
	v_add_co_ci_u32_e32 v4, vcc_lo, s3, v4, vcc_lo
	global_load_u16 v5, v[3:4], off
	s_waitcnt vmcnt(0)
	v_add_f16_e32 v5, v5, v48
	global_store_b16 v[3:4], v5, off
.LBB36_390:                             ;   in Loop: Header=BB36_69 Depth=1
	s_or_b32 exec_lo, exec_lo, s2
                                        ; implicit-def: $vgpr61
                                        ; implicit-def: $vgpr60
                                        ; implicit-def: $vgpr59
                                        ; implicit-def: $vgpr57
                                        ; implicit-def: $vgpr55
                                        ; implicit-def: $vgpr52
                                        ; implicit-def: $vgpr50
                                        ; implicit-def: $vgpr48
                                        ; implicit-def: $vgpr20
.LBB36_391:                             ;   in Loop: Header=BB36_69 Depth=1
	s_and_not1_saveexec_b32 s1, s1
	s_cbranch_execz .LBB36_393
; %bb.392:                              ;   in Loop: Header=BB36_69 Depth=1
	v_add_nc_u32_e32 v3, s42, v20
	v_perm_b32 v6, v48, v50, 0x5040100
	v_perm_b32 v5, v52, v55, 0x5040100
	s_delay_alu instid0(VALU_DEP_3) | instskip(NEXT) | instid1(VALU_DEP_1)
	v_ashrrev_i32_e32 v4, 31, v3
	v_lshrrev_b32_e32 v4, 29, v4
	s_delay_alu instid0(VALU_DEP_1) | instskip(NEXT) | instid1(VALU_DEP_1)
	v_add_nc_u32_e32 v3, v3, v4
	v_ashrrev_i32_e32 v3, 3, v3
	s_delay_alu instid0(VALU_DEP_1) | instskip(NEXT) | instid1(VALU_DEP_1)
	v_ashrrev_i32_e32 v4, 31, v3
	v_lshlrev_b64 v[3:4], 4, v[3:4]
	s_delay_alu instid0(VALU_DEP_1) | instskip(NEXT) | instid1(VALU_DEP_2)
	v_add_co_u32 v25, vcc_lo, s50, v3
	v_add_co_ci_u32_e32 v26, vcc_lo, s51, v4, vcc_lo
	v_perm_b32 v4, v57, v59, 0x5040100
	global_load_u16 v3, v[25:26], off offset:14
	s_waitcnt vmcnt(0)
	v_add_f16_e32 v3, v61, v3
	s_delay_alu instid0(VALU_DEP_1)
	v_perm_b32 v3, v60, v3, 0x5040100
	global_store_b128 v[25:26], v[3:6], off
.LBB36_393:                             ;   in Loop: Header=BB36_69 Depth=1
	s_or_b32 exec_lo, exec_lo, s1
	v_cmp_gt_i32_e32 vcc_lo, s41, v13
	v_cmp_le_i32_e64 s1, s41, v13
	s_delay_alu instid0(VALU_DEP_1) | instskip(NEXT) | instid1(SALU_CYCLE_1)
	s_and_saveexec_b32 s2, s1
	s_xor_b32 s1, exec_lo, s2
	s_cbranch_execz .LBB36_411
; %bb.394:                              ;   in Loop: Header=BB36_69 Depth=1
	s_and_saveexec_b32 s2, s0
	s_cbranch_execz .LBB36_396
; %bb.395:                              ;   in Loop: Header=BB36_69 Depth=1
	v_ashrrev_i32_e32 v4, 31, v12
	v_add_co_u32 v3, s0, v12, s42
	v_readlane_b32 s3, v66, 13
	s_delay_alu instid0(VALU_DEP_3) | instskip(SKIP_1) | instid1(VALU_DEP_2)
	v_add_co_ci_u32_e64 v4, s0, s56, v4, s0
	v_readlane_b32 s0, v66, 12
	v_lshlrev_b64 v[3:4], 1, v[3:4]
	s_delay_alu instid0(VALU_DEP_1) | instskip(NEXT) | instid1(VALU_DEP_1)
	v_add_co_u32 v3, s0, s0, v3
	v_add_co_ci_u32_e64 v4, s0, s3, v4, s0
	global_load_u16 v5, v[3:4], off
	s_waitcnt vmcnt(0)
	v_add_f16_e32 v5, v5, v43
	global_store_b16 v[3:4], v5, off
.LBB36_396:                             ;   in Loop: Header=BB36_69 Depth=1
	s_or_b32 exec_lo, exec_lo, s2
	v_or_b32_e32 v3, 17, v12
	s_mov_b32 s2, exec_lo
	s_delay_alu instid0(VALU_DEP_1)
	v_cmpx_gt_i32_e64 s41, v3
	s_cbranch_execz .LBB36_398
; %bb.397:                              ;   in Loop: Header=BB36_69 Depth=1
	v_ashrrev_i32_e32 v4, 31, v12
	v_add_co_u32 v3, s0, v12, s42
	v_readlane_b32 s3, v66, 15
	s_delay_alu instid0(VALU_DEP_3) | instskip(SKIP_1) | instid1(VALU_DEP_2)
	v_add_co_ci_u32_e64 v4, s0, s56, v4, s0
	v_readlane_b32 s0, v66, 14
	v_lshlrev_b64 v[3:4], 1, v[3:4]
	s_delay_alu instid0(VALU_DEP_1) | instskip(NEXT) | instid1(VALU_DEP_1)
	v_add_co_u32 v3, s0, s0, v3
	v_add_co_ci_u32_e64 v4, s0, s3, v4, s0
	global_load_u16 v5, v[3:4], off
	s_waitcnt vmcnt(0)
	v_add_f16_e32 v5, v5, v41
	global_store_b16 v[3:4], v5, off
.LBB36_398:                             ;   in Loop: Header=BB36_69 Depth=1
	s_or_b32 exec_lo, exec_lo, s2
	v_or_b32_e32 v3, 18, v12
	s_mov_b32 s2, exec_lo
	s_delay_alu instid0(VALU_DEP_1)
	v_cmpx_gt_i32_e64 s41, v3
	;; [unrolled: 22-line block ×7, first 2 shown]
	s_cbranch_execz .LBB36_410
; %bb.409:                              ;   in Loop: Header=BB36_69 Depth=1
	v_ashrrev_i32_e32 v4, 31, v12
	v_add_co_u32 v3, s0, v12, s42
	v_readlane_b32 s3, v66, 27
	s_delay_alu instid0(VALU_DEP_3) | instskip(SKIP_1) | instid1(VALU_DEP_2)
	v_add_co_ci_u32_e64 v4, s0, s56, v4, s0
	v_readlane_b32 s0, v66, 26
	v_lshlrev_b64 v[3:4], 1, v[3:4]
	s_delay_alu instid0(VALU_DEP_1) | instskip(NEXT) | instid1(VALU_DEP_1)
	v_add_co_u32 v3, s0, s0, v3
	v_add_co_ci_u32_e64 v4, s0, s3, v4, s0
	global_load_u16 v5, v[3:4], off
	s_waitcnt vmcnt(0)
	v_add_f16_e32 v5, v5, v28
	global_store_b16 v[3:4], v5, off
.LBB36_410:                             ;   in Loop: Header=BB36_69 Depth=1
	s_or_b32 exec_lo, exec_lo, s2
                                        ; implicit-def: $vgpr43
                                        ; implicit-def: $vgpr41
                                        ; implicit-def: $vgpr39
                                        ; implicit-def: $vgpr35
                                        ; implicit-def: $vgpr33
                                        ; implicit-def: $vgpr31
                                        ; implicit-def: $vgpr29
                                        ; implicit-def: $vgpr28
                                        ; implicit-def: $vgpr16
.LBB36_411:                             ;   in Loop: Header=BB36_69 Depth=1
	s_and_not1_saveexec_b32 s1, s1
	s_cbranch_execz .LBB36_413
; %bb.412:                              ;   in Loop: Header=BB36_69 Depth=1
	v_add_nc_u32_e32 v3, s42, v16
	v_perm_b32 v6, v28, v29, 0x5040100
	v_perm_b32 v5, v31, v33, 0x5040100
	s_delay_alu instid0(VALU_DEP_3) | instskip(NEXT) | instid1(VALU_DEP_1)
	v_ashrrev_i32_e32 v4, 31, v3
	v_lshrrev_b32_e32 v4, 29, v4
	s_delay_alu instid0(VALU_DEP_1) | instskip(NEXT) | instid1(VALU_DEP_1)
	v_add_nc_u32_e32 v3, v3, v4
	v_ashrrev_i32_e32 v3, 3, v3
	s_delay_alu instid0(VALU_DEP_1) | instskip(NEXT) | instid1(VALU_DEP_1)
	v_ashrrev_i32_e32 v4, 31, v3
	v_lshlrev_b64 v[25:26], 4, v[3:4]
	v_perm_b32 v4, v35, v39, 0x5040100
	v_perm_b32 v3, v41, v43, 0x5040100
	s_delay_alu instid0(VALU_DEP_3) | instskip(NEXT) | instid1(VALU_DEP_1)
	v_add_co_u32 v25, s0, s50, v25
	v_add_co_ci_u32_e64 v26, s0, s51, v26, s0
	global_store_b128 v[25:26], v[3:6], off
.LBB36_413:                             ;   in Loop: Header=BB36_69 Depth=1
	s_or_b32 exec_lo, exec_lo, s1
	v_cmp_le_i32_e64 s0, s41, v14
	s_delay_alu instid0(VALU_DEP_1) | instskip(NEXT) | instid1(SALU_CYCLE_1)
	s_and_saveexec_b32 s1, s0
	s_xor_b32 s0, exec_lo, s1
	s_cbranch_execz .LBB36_431
; %bb.414:                              ;   in Loop: Header=BB36_69 Depth=1
	s_and_saveexec_b32 s1, vcc_lo
	s_cbranch_execz .LBB36_416
; %bb.415:                              ;   in Loop: Header=BB36_69 Depth=1
	v_ashrrev_i32_e32 v4, 31, v12
	v_add_co_u32 v3, vcc_lo, v12, s42
	v_readlane_b32 s2, v66, 28
	s_delay_alu instid0(VALU_DEP_3) | instskip(NEXT) | instid1(VALU_DEP_1)
	v_add_co_ci_u32_e32 v4, vcc_lo, s56, v4, vcc_lo
	v_lshlrev_b64 v[3:4], 1, v[3:4]
	s_delay_alu instid0(VALU_DEP_1) | instskip(SKIP_1) | instid1(VALU_DEP_1)
	v_add_co_u32 v3, vcc_lo, s2, v3
	v_readlane_b32 s2, v66, 29
	v_add_co_ci_u32_e32 v4, vcc_lo, s2, v4, vcc_lo
	global_load_u16 v5, v[3:4], off
	s_waitcnt vmcnt(0)
	v_add_f16_e32 v5, v5, v24
	global_store_b16 v[3:4], v5, off
.LBB36_416:                             ;   in Loop: Header=BB36_69 Depth=1
	s_or_b32 exec_lo, exec_lo, s1
	v_or_b32_e32 v3, 25, v12
	s_mov_b32 s1, exec_lo
	s_delay_alu instid0(VALU_DEP_1)
	v_cmpx_gt_i32_e64 s41, v3
	s_cbranch_execz .LBB36_418
; %bb.417:                              ;   in Loop: Header=BB36_69 Depth=1
	v_ashrrev_i32_e32 v4, 31, v12
	v_add_co_u32 v3, vcc_lo, v12, s42
	v_readlane_b32 s2, v66, 30
	s_delay_alu instid0(VALU_DEP_3) | instskip(NEXT) | instid1(VALU_DEP_1)
	v_add_co_ci_u32_e32 v4, vcc_lo, s56, v4, vcc_lo
	v_lshlrev_b64 v[3:4], 1, v[3:4]
	s_delay_alu instid0(VALU_DEP_1) | instskip(NEXT) | instid1(VALU_DEP_2)
	v_add_co_u32 v3, vcc_lo, s2, v3
	v_add_co_ci_u32_e32 v4, vcc_lo, vcc_hi, v4, vcc_lo
	global_load_u16 v5, v[3:4], off
	s_waitcnt vmcnt(0)
	v_add_f16_e32 v5, v5, v23
	global_store_b16 v[3:4], v5, off
.LBB36_418:                             ;   in Loop: Header=BB36_69 Depth=1
	s_or_b32 exec_lo, exec_lo, s1
	v_or_b32_e32 v3, 26, v12
	s_mov_b32 s1, exec_lo
	s_delay_alu instid0(VALU_DEP_1)
	v_cmpx_gt_i32_e64 s41, v3
	s_cbranch_execz .LBB36_420
; %bb.419:                              ;   in Loop: Header=BB36_69 Depth=1
	v_ashrrev_i32_e32 v4, 31, v12
	v_add_co_u32 v3, vcc_lo, v12, s42
	s_delay_alu instid0(VALU_DEP_2) | instskip(NEXT) | instid1(VALU_DEP_1)
	v_add_co_ci_u32_e32 v4, vcc_lo, s56, v4, vcc_lo
	v_lshlrev_b64 v[3:4], 1, v[3:4]
	s_delay_alu instid0(VALU_DEP_1) | instskip(NEXT) | instid1(VALU_DEP_2)
	v_add_co_u32 v3, vcc_lo, s45, v3
	v_add_co_ci_u32_e32 v4, vcc_lo, s46, v4, vcc_lo
	global_load_u16 v5, v[3:4], off
	s_waitcnt vmcnt(0)
	v_add_f16_e32 v5, v5, v22
	global_store_b16 v[3:4], v5, off
.LBB36_420:                             ;   in Loop: Header=BB36_69 Depth=1
	s_or_b32 exec_lo, exec_lo, s1
	v_or_b32_e32 v3, 27, v12
	s_mov_b32 s1, exec_lo
	s_delay_alu instid0(VALU_DEP_1)
	v_cmpx_gt_i32_e64 s41, v3
	s_cbranch_execz .LBB36_422
; %bb.421:                              ;   in Loop: Header=BB36_69 Depth=1
	v_ashrrev_i32_e32 v4, 31, v12
	v_add_co_u32 v3, vcc_lo, v12, s42
	s_delay_alu instid0(VALU_DEP_2) | instskip(NEXT) | instid1(VALU_DEP_1)
	v_add_co_ci_u32_e32 v4, vcc_lo, s56, v4, vcc_lo
	v_lshlrev_b64 v[3:4], 1, v[3:4]
	s_delay_alu instid0(VALU_DEP_1) | instskip(NEXT) | instid1(VALU_DEP_2)
	v_add_co_u32 v3, vcc_lo, s47, v3
	v_add_co_ci_u32_e32 v4, vcc_lo, s53, v4, vcc_lo
	global_load_u16 v5, v[3:4], off
	s_waitcnt vmcnt(0)
	v_add_f16_e32 v5, v5, v21
	global_store_b16 v[3:4], v5, off
.LBB36_422:                             ;   in Loop: Header=BB36_69 Depth=1
	;; [unrolled: 20-line block ×6, first 2 shown]
	s_or_b32 exec_lo, exec_lo, s1
                                        ; implicit-def: $vgpr24
                                        ; implicit-def: $vgpr23
                                        ; implicit-def: $vgpr22
                                        ; implicit-def: $vgpr21
                                        ; implicit-def: $vgpr19
                                        ; implicit-def: $vgpr18
                                        ; implicit-def: $vgpr17
                                        ; implicit-def: $vgpr15
                                        ; implicit-def: $vgpr13
.LBB36_431:                             ;   in Loop: Header=BB36_69 Depth=1
	s_and_not1_saveexec_b32 s0, s0
	s_cbranch_execz .LBB36_68
; %bb.432:                              ;   in Loop: Header=BB36_69 Depth=1
	v_add_nc_u32_e32 v3, s42, v13
	v_perm_b32 v6, v15, v17, 0x5040100
	v_perm_b32 v5, v18, v19, 0x5040100
	s_delay_alu instid0(VALU_DEP_3) | instskip(NEXT) | instid1(VALU_DEP_1)
	v_ashrrev_i32_e32 v4, 31, v3
	v_lshrrev_b32_e32 v4, 29, v4
	s_delay_alu instid0(VALU_DEP_1) | instskip(NEXT) | instid1(VALU_DEP_1)
	v_add_nc_u32_e32 v3, v3, v4
	v_ashrrev_i32_e32 v3, 3, v3
	s_delay_alu instid0(VALU_DEP_1) | instskip(NEXT) | instid1(VALU_DEP_1)
	v_ashrrev_i32_e32 v4, 31, v3
	v_lshlrev_b64 v[12:13], 4, v[3:4]
	v_perm_b32 v4, v21, v22, 0x5040100
	v_perm_b32 v3, v23, v24, 0x5040100
	s_delay_alu instid0(VALU_DEP_3) | instskip(NEXT) | instid1(VALU_DEP_4)
	v_add_co_u32 v12, vcc_lo, s50, v12
	v_add_co_ci_u32_e32 v13, vcc_lo, s51, v13, vcc_lo
	global_store_b128 v[12:13], v[3:6], off
	s_branch .LBB36_68
.LBB36_433:
	s_endpgm
	.section	.rodata,"a",@progbits
	.p2align	6, 0x0
	.amdhsa_kernel _Z27kspmm_coo_very_sparse_naiveIaLi32ELi8EEvPiS0_S0_S0_S0_P6__halfPT_S2_Pfiiii
		.amdhsa_group_segment_fixed_size 4096
		.amdhsa_private_segment_fixed_size 208
		.amdhsa_kernarg_size 344
		.amdhsa_user_sgpr_count 15
		.amdhsa_user_sgpr_dispatch_ptr 0
		.amdhsa_user_sgpr_queue_ptr 0
		.amdhsa_user_sgpr_kernarg_segment_ptr 1
		.amdhsa_user_sgpr_dispatch_id 0
		.amdhsa_user_sgpr_private_segment_size 0
		.amdhsa_wavefront_size32 1
		.amdhsa_uses_dynamic_stack 0
		.amdhsa_enable_private_segment 1
		.amdhsa_system_sgpr_workgroup_id_x 1
		.amdhsa_system_sgpr_workgroup_id_y 0
		.amdhsa_system_sgpr_workgroup_id_z 0
		.amdhsa_system_sgpr_workgroup_info 0
		.amdhsa_system_vgpr_workitem_id 0
		.amdhsa_next_free_vgpr 68
		.amdhsa_next_free_sgpr 105
		.amdhsa_reserve_vcc 1
		.amdhsa_float_round_mode_32 0
		.amdhsa_float_round_mode_16_64 0
		.amdhsa_float_denorm_mode_32 3
		.amdhsa_float_denorm_mode_16_64 3
		.amdhsa_dx10_clamp 1
		.amdhsa_ieee_mode 1
		.amdhsa_fp16_overflow 0
		.amdhsa_workgroup_processor_mode 1
		.amdhsa_memory_ordered 1
		.amdhsa_forward_progress 0
		.amdhsa_shared_vgpr_count 0
		.amdhsa_exception_fp_ieee_invalid_op 0
		.amdhsa_exception_fp_denorm_src 0
		.amdhsa_exception_fp_ieee_div_zero 0
		.amdhsa_exception_fp_ieee_overflow 0
		.amdhsa_exception_fp_ieee_underflow 0
		.amdhsa_exception_fp_ieee_inexact 0
		.amdhsa_exception_int_div_zero 0
	.end_amdhsa_kernel
	.section	.text._Z27kspmm_coo_very_sparse_naiveIaLi32ELi8EEvPiS0_S0_S0_S0_P6__halfPT_S2_Pfiiii,"axG",@progbits,_Z27kspmm_coo_very_sparse_naiveIaLi32ELi8EEvPiS0_S0_S0_S0_P6__halfPT_S2_Pfiiii,comdat
.Lfunc_end36:
	.size	_Z27kspmm_coo_very_sparse_naiveIaLi32ELi8EEvPiS0_S0_S0_S0_P6__halfPT_S2_Pfiiii, .Lfunc_end36-_Z27kspmm_coo_very_sparse_naiveIaLi32ELi8EEvPiS0_S0_S0_S0_P6__halfPT_S2_Pfiiii
                                        ; -- End function
	.section	.AMDGPU.csdata,"",@progbits
; Kernel info:
; codeLenInByte = 20484
; NumSgprs: 107
; NumVgprs: 68
; ScratchSize: 208
; MemoryBound: 0
; FloatMode: 240
; IeeeMode: 1
; LDSByteSize: 4096 bytes/workgroup (compile time only)
; SGPRBlocks: 13
; VGPRBlocks: 8
; NumSGPRsForWavesPerEU: 107
; NumVGPRsForWavesPerEU: 68
; Occupancy: 16
; WaveLimiterHint : 1
; COMPUTE_PGM_RSRC2:SCRATCH_EN: 1
; COMPUTE_PGM_RSRC2:USER_SGPR: 15
; COMPUTE_PGM_RSRC2:TRAP_HANDLER: 0
; COMPUTE_PGM_RSRC2:TGID_X_EN: 1
; COMPUTE_PGM_RSRC2:TGID_Y_EN: 0
; COMPUTE_PGM_RSRC2:TGID_Z_EN: 0
; COMPUTE_PGM_RSRC2:TIDIG_COMP_CNT: 0
	.section	.text._Z22kdequant_mm_int32_fp16ILi4ELi512EEvPiPfS1_P6__halfS3_iii,"axG",@progbits,_Z22kdequant_mm_int32_fp16ILi4ELi512EEvPiPfS1_P6__halfS3_iii,comdat
